;; amdgpu-corpus repo=ROCm/rocFFT kind=compiled arch=gfx1030 opt=O3
	.text
	.amdgcn_target "amdgcn-amd-amdhsa--gfx1030"
	.amdhsa_code_object_version 6
	.protected	bluestein_single_back_len1716_dim1_half_op_CI_CI ; -- Begin function bluestein_single_back_len1716_dim1_half_op_CI_CI
	.globl	bluestein_single_back_len1716_dim1_half_op_CI_CI
	.p2align	8
	.type	bluestein_single_back_len1716_dim1_half_op_CI_CI,@function
bluestein_single_back_len1716_dim1_half_op_CI_CI: ; @bluestein_single_back_len1716_dim1_half_op_CI_CI
; %bb.0:
	s_load_dwordx4 s[0:3], s[4:5], 0x28
	v_mul_u32_u24_e32 v1, 0x1a5, v0
	v_mov_b32_e32 v17, 0
	v_lshrrev_b32_e32 v1, 16, v1
	v_add_nc_u32_e32 v16, s6, v1
	s_waitcnt lgkmcnt(0)
	v_cmp_gt_u64_e32 vcc_lo, s[0:1], v[16:17]
	s_and_saveexec_b32 s0, vcc_lo
	s_cbranch_execz .LBB0_31
; %bb.1:
	s_clause 0x1
	s_load_dwordx2 s[14:15], s[4:5], 0x0
	s_load_dwordx2 s[12:13], s[4:5], 0x38
	v_mul_lo_u16 v1, 0x9c, v1
	v_sub_nc_u16 v0, v0, v1
	v_and_b32_e32 v32, 0xffff, v0
	v_cmp_gt_u16_e32 vcc_lo, 0x84, v0
	v_lshlrev_b32_e32 v31, 2, v32
	s_and_saveexec_b32 s1, vcc_lo
	s_cbranch_execz .LBB0_3
; %bb.2:
	s_load_dwordx2 s[6:7], s[4:5], 0x18
	s_waitcnt lgkmcnt(0)
	v_add_co_u32 v8, s0, s14, v31
	v_add_co_ci_u32_e64 v9, null, s15, 0, s0
	v_add_nc_u32_e32 v35, 0xc00, v31
	s_load_dwordx4 s[8:11], s[6:7], 0x0
	s_clause 0x3
	global_load_dword v10, v31, s[14:15]
	global_load_dword v11, v31, s[14:15] offset:528
	global_load_dword v12, v31, s[14:15] offset:1056
	;; [unrolled: 1-line block ×3, first 2 shown]
	s_waitcnt lgkmcnt(0)
	v_mad_u64_u32 v[0:1], null, s10, v16, 0
	v_mad_u64_u32 v[2:3], null, s8, v32, 0
	s_mul_i32 s6, s9, 0x210
	s_mul_hi_u32 s7, s8, 0x210
	s_add_i32 s7, s7, s6
	v_mad_u64_u32 v[4:5], null, s11, v16, v[1:2]
	v_mad_u64_u32 v[5:6], null, s9, v32, v[3:4]
	v_mov_b32_e32 v1, v4
	v_lshlrev_b64 v[0:1], 2, v[0:1]
	v_mov_b32_e32 v3, v5
	v_add_co_u32 v0, s0, s2, v0
	v_lshlrev_b64 v[2:3], 2, v[2:3]
	v_add_co_ci_u32_e64 v1, s0, s3, v1, s0
	s_mul_i32 s2, s8, 0x210
	v_add_co_u32 v0, s0, v0, v2
	v_add_co_ci_u32_e64 v1, s0, v1, v3, s0
	v_add_co_u32 v2, s0, v0, s2
	v_add_co_ci_u32_e64 v3, s0, s7, v1, s0
	;; [unrolled: 2-line block ×3, first 2 shown]
	s_clause 0x1
	global_load_dword v14, v[0:1], off
	global_load_dword v15, v[2:3], off
	v_add_co_u32 v0, s0, v2, s2
	v_add_co_ci_u32_e64 v1, s0, s7, v3, s0
	v_add_co_u32 v2, s0, 0x1000, v8
	v_add_co_ci_u32_e64 v3, s0, 0, v9, s0
	global_load_dword v17, v[0:1], off
	v_add_co_u32 v0, s0, v0, s2
	v_add_co_ci_u32_e64 v1, s0, s7, v1, s0
	global_load_dword v18, v[4:5], off offset:64
	v_add_co_u32 v6, s0, v0, s2
	v_add_co_ci_u32_e64 v7, s0, s7, v1, s0
	global_load_dword v19, v[0:1], off
	v_add_co_u32 v0, s0, v6, s2
	v_add_co_ci_u32_e64 v1, s0, s7, v7, s0
	global_load_dword v20, v[6:7], off
	v_add_co_u32 v6, s0, v0, s2
	v_add_co_ci_u32_e64 v7, s0, s7, v1, s0
	s_clause 0x2
	global_load_dword v21, v[4:5], off offset:592
	global_load_dword v22, v[4:5], off offset:1120
	;; [unrolled: 1-line block ×3, first 2 shown]
	global_load_dword v24, v[0:1], off
	global_load_dword v25, v[6:7], off
	v_add_co_u32 v0, s0, v6, s2
	v_add_co_ci_u32_e64 v1, s0, s7, v7, s0
	s_clause 0x2
	global_load_dword v26, v[2:3], off offset:128
	global_load_dword v27, v[2:3], off offset:656
	;; [unrolled: 1-line block ×3, first 2 shown]
	v_add_co_u32 v4, s0, v0, s2
	v_add_co_ci_u32_e64 v5, s0, s7, v1, s0
	global_load_dword v29, v[0:1], off
	v_add_co_u32 v0, s0, v4, s2
	v_add_co_ci_u32_e64 v1, s0, s7, v5, s0
	global_load_dword v30, v[4:5], off
	;; [unrolled: 3-line block ×4, first 2 shown]
	v_add_co_u32 v4, s0, v0, s2
	v_add_co_ci_u32_e64 v5, s0, s7, v1, s0
	v_add_co_u32 v6, s0, 0x1800, v8
	v_add_co_ci_u32_e64 v7, s0, 0, v9, s0
	global_load_dword v0, v[0:1], off
	global_load_dword v1, v[4:5], off
	s_clause 0x1
	global_load_dword v2, v[2:3], off offset:1712
	global_load_dword v3, v[6:7], off offset:192
	v_add_nc_u32_e32 v5, 0x400, v31
	v_add_nc_u32_e32 v6, 0x800, v31
	s_waitcnt vmcnt(21)
	v_lshrrev_b32_e32 v4, 16, v14
	v_mul_f16_sdwa v7, v10, v14 dst_sel:DWORD dst_unused:UNUSED_PAD src0_sel:WORD_1 src1_sel:DWORD
	s_waitcnt vmcnt(20)
	v_lshrrev_b32_e32 v9, 16, v15
	v_mul_f16_sdwa v36, v11, v15 dst_sel:DWORD dst_unused:UNUSED_PAD src0_sel:WORD_1 src1_sel:DWORD
	v_mul_f16_sdwa v8, v10, v4 dst_sel:DWORD dst_unused:UNUSED_PAD src0_sel:WORD_1 src1_sel:DWORD
	v_fma_f16 v4, v10, v4, -v7
	v_mul_f16_sdwa v7, v11, v9 dst_sel:DWORD dst_unused:UNUSED_PAD src0_sel:WORD_1 src1_sel:DWORD
	v_fma_f16 v9, v11, v9, -v36
	v_fmac_f16_e32 v8, v10, v14
	s_waitcnt vmcnt(19)
	v_lshrrev_b32_e32 v10, 16, v17
	v_mul_f16_sdwa v14, v12, v17 dst_sel:DWORD dst_unused:UNUSED_PAD src0_sel:WORD_1 src1_sel:DWORD
	v_fmac_f16_e32 v7, v11, v15
	v_pack_b32_f16 v4, v8, v4
	v_mul_f16_sdwa v8, v12, v10 dst_sel:DWORD dst_unused:UNUSED_PAD src0_sel:WORD_1 src1_sel:DWORD
	v_fma_f16 v10, v12, v10, -v14
	v_pack_b32_f16 v7, v7, v9
	s_waitcnt vmcnt(17)
	v_lshrrev_b32_e32 v11, 16, v19
	v_mul_f16_sdwa v15, v13, v19 dst_sel:DWORD dst_unused:UNUSED_PAD src0_sel:WORD_1 src1_sel:DWORD
	v_fmac_f16_e32 v8, v12, v17
	ds_write2_b32 v31, v4, v7 offset1:132
	v_mul_f16_sdwa v9, v13, v11 dst_sel:DWORD dst_unused:UNUSED_PAD src0_sel:WORD_1 src1_sel:DWORD
	s_waitcnt vmcnt(16)
	v_lshrrev_b32_e32 v12, 16, v20
	v_fma_f16 v11, v13, v11, -v15
	v_mul_f16_sdwa v14, v18, v20 dst_sel:DWORD dst_unused:UNUSED_PAD src0_sel:WORD_1 src1_sel:DWORD
	v_pack_b32_f16 v4, v8, v10
	v_fmac_f16_e32 v9, v13, v19
	v_mul_f16_sdwa v7, v18, v12 dst_sel:DWORD dst_unused:UNUSED_PAD src0_sel:WORD_1 src1_sel:DWORD
	s_waitcnt vmcnt(12)
	v_lshrrev_b32_e32 v8, 16, v24
	v_mul_f16_sdwa v10, v21, v24 dst_sel:DWORD dst_unused:UNUSED_PAD src0_sel:WORD_1 src1_sel:DWORD
	v_fma_f16 v12, v18, v12, -v14
	v_pack_b32_f16 v9, v9, v11
	v_fmac_f16_e32 v7, v18, v20
	v_mul_f16_sdwa v11, v21, v8 dst_sel:DWORD dst_unused:UNUSED_PAD src0_sel:WORD_1 src1_sel:DWORD
	v_fma_f16 v8, v21, v8, -v10
	s_waitcnt vmcnt(11)
	v_lshrrev_b32_e32 v10, 16, v25
	v_mul_f16_sdwa v13, v22, v25 dst_sel:DWORD dst_unused:UNUSED_PAD src0_sel:WORD_1 src1_sel:DWORD
	ds_write2_b32 v5, v4, v9 offset0:8 offset1:140
	v_pack_b32_f16 v4, v7, v12
	v_fmac_f16_e32 v11, v21, v24
	s_waitcnt vmcnt(7)
	v_lshrrev_b32_e32 v7, 16, v29
	v_mul_f16_sdwa v5, v22, v10 dst_sel:DWORD dst_unused:UNUSED_PAD src0_sel:WORD_1 src1_sel:DWORD
	v_fma_f16 v9, v22, v10, -v13
	v_mul_f16_sdwa v10, v23, v29 dst_sel:DWORD dst_unused:UNUSED_PAD src0_sel:WORD_1 src1_sel:DWORD
	v_pack_b32_f16 v8, v11, v8
	v_mul_f16_sdwa v11, v23, v7 dst_sel:DWORD dst_unused:UNUSED_PAD src0_sel:WORD_1 src1_sel:DWORD
	v_fmac_f16_e32 v5, v22, v25
	s_waitcnt vmcnt(6)
	v_lshrrev_b32_e32 v12, 16, v30
	v_fma_f16 v7, v23, v7, -v10
	v_mul_f16_sdwa v10, v26, v30 dst_sel:DWORD dst_unused:UNUSED_PAD src0_sel:WORD_1 src1_sel:DWORD
	v_fmac_f16_e32 v11, v23, v29
	s_waitcnt vmcnt(5)
	v_lshrrev_b32_e32 v13, 16, v33
	v_pack_b32_f16 v5, v5, v9
	v_mul_f16_sdwa v9, v26, v12 dst_sel:DWORD dst_unused:UNUSED_PAD src0_sel:WORD_1 src1_sel:DWORD
	v_fma_f16 v10, v26, v12, -v10
	v_mul_f16_sdwa v12, v27, v33 dst_sel:DWORD dst_unused:UNUSED_PAD src0_sel:WORD_1 src1_sel:DWORD
	v_pack_b32_f16 v7, v11, v7
	v_mul_f16_sdwa v11, v27, v13 dst_sel:DWORD dst_unused:UNUSED_PAD src0_sel:WORD_1 src1_sel:DWORD
	v_fmac_f16_e32 v9, v26, v30
	s_waitcnt vmcnt(4)
	v_lshrrev_b32_e32 v14, 16, v34
	v_fma_f16 v12, v27, v13, -v12
	v_mul_f16_sdwa v13, v28, v34 dst_sel:DWORD dst_unused:UNUSED_PAD src0_sel:WORD_1 src1_sel:DWORD
	v_fmac_f16_e32 v11, v27, v33
	s_waitcnt vmcnt(3)
	v_lshrrev_b32_e32 v15, 16, v0
	s_waitcnt vmcnt(2)
	v_lshrrev_b32_e32 v17, 16, v1
	v_pack_b32_f16 v9, v9, v10
	v_mul_f16_sdwa v10, v28, v14 dst_sel:DWORD dst_unused:UNUSED_PAD src0_sel:WORD_1 src1_sel:DWORD
	v_fma_f16 v13, v28, v14, -v13
	s_waitcnt vmcnt(1)
	v_mul_f16_sdwa v14, v2, v0 dst_sel:DWORD dst_unused:UNUSED_PAD src0_sel:WORD_1 src1_sel:DWORD
	v_pack_b32_f16 v11, v11, v12
	v_mul_f16_sdwa v12, v2, v15 dst_sel:DWORD dst_unused:UNUSED_PAD src0_sel:WORD_1 src1_sel:DWORD
	s_waitcnt vmcnt(0)
	v_mul_f16_sdwa v18, v3, v17 dst_sel:DWORD dst_unused:UNUSED_PAD src0_sel:WORD_1 src1_sel:DWORD
	v_mul_f16_sdwa v19, v3, v1 dst_sel:DWORD dst_unused:UNUSED_PAD src0_sel:WORD_1 src1_sel:DWORD
	v_fmac_f16_e32 v10, v28, v34
	v_fma_f16 v14, v2, v15, -v14
	v_fmac_f16_e32 v12, v2, v0
	v_fmac_f16_e32 v18, v3, v1
	v_fma_f16 v0, v3, v17, -v19
	v_add_nc_u32_e32 v1, 0x1000, v31
	v_pack_b32_f16 v2, v10, v13
	v_pack_b32_f16 v3, v12, v14
	v_add_nc_u32_e32 v10, 0x1400, v31
	v_pack_b32_f16 v0, v18, v0
	ds_write2_b32 v6, v4, v8 offset0:16 offset1:148
	ds_write2_b32 v35, v5, v7 offset0:24 offset1:156
	;; [unrolled: 1-line block ×4, first 2 shown]
	ds_write_b32 v31, v0 offset:6336
.LBB0_3:
	s_or_b32 exec_lo, exec_lo, s1
	v_mov_b32_e32 v4, 0
                                        ; kill: def $vgpr0 killed $sgpr0 killed $exec
	s_waitcnt lgkmcnt(0)
	s_barrier
	buffer_gl0_inv
                                        ; implicit-def: $vgpr14
                                        ; implicit-def: $vgpr1
                                        ; implicit-def: $vgpr3
                                        ; implicit-def: $vgpr7
                                        ; implicit-def: $vgpr9
                                        ; implicit-def: $vgpr11
	s_and_saveexec_b32 s0, vcc_lo
	s_cbranch_execz .LBB0_5
; %bb.4:
	v_add_nc_u32_e32 v0, 0x400, v31
	v_add_nc_u32_e32 v1, 0x800, v31
	;; [unrolled: 1-line block ×5, first 2 shown]
	ds_read2_b32 v[4:5], v31 offset1:132
	ds_read2_b32 v[10:11], v0 offset0:8 offset1:140
	ds_read2_b32 v[8:9], v1 offset0:16 offset1:148
	;; [unrolled: 1-line block ×5, first 2 shown]
	ds_read_b32 v14, v31 offset:6336
.LBB0_5:
	s_or_b32 exec_lo, exec_lo, s0
	s_waitcnt lgkmcnt(0)
	v_pk_add_f16 v18, v5, v14 neg_lo:[0,1] neg_hi:[0,1]
	v_mov_b32_e32 v12, 0xb770
	v_pk_add_f16 v20, v14, v5
	v_mov_b32_e32 v80, 0xbbf1
	v_pk_add_f16 v19, v10, v1 neg_lo:[0,1] neg_hi:[0,1]
	v_mul_f16_e32 v38, 0xba95, v18
	v_mul_f16_sdwa v26, v18, v12 dst_sel:DWORD dst_unused:UNUSED_PAD src0_sel:WORD_1 src1_sel:DWORD
	v_lshrrev_b32_e32 v47, 16, v20
	v_mul_f16_sdwa v40, v18, v80 dst_sel:DWORD dst_unused:UNUSED_PAD src0_sel:WORD_1 src1_sel:DWORD
	v_mov_b32_e32 v77, 0xba95
	v_pk_add_f16 v22, v1, v10
	v_mov_b32_e32 v33, 0xb3a8
	v_mul_f16_e32 v44, 0xbbf1, v18
	v_fmamk_f16 v12, v20, 0x3b15, v26
	v_fma_f16 v13, v47, 0x388b, -v38
	v_fmamk_f16 v15, v20, 0x2fb7, v40
	v_mul_f16_sdwa v29, v19, v77 dst_sel:DWORD dst_unused:UNUSED_PAD src0_sel:WORD_1 src1_sel:DWORD
	v_lshrrev_b32_e32 v52, 16, v22
	v_mul_f16_e32 v41, 0xbb7b, v19
	v_mul_f16_sdwa v43, v19, v33 dst_sel:DWORD dst_unused:UNUSED_PAD src0_sel:WORD_1 src1_sel:DWORD
	v_pk_add_f16 v21, v11, v0 neg_lo:[0,1] neg_hi:[0,1]
	v_fma_f16 v17, v47, 0x2fb7, -v44
	v_add_f16_e32 v12, v12, v4
	v_add_f16_sdwa v13, v13, v4 dst_sel:DWORD dst_unused:UNUSED_PAD src0_sel:DWORD src1_sel:WORD_1
	v_add_f16_e32 v15, v15, v4
	v_mul_f16_e32 v51, 0xb3a8, v19
	v_fmamk_f16 v24, v22, 0x388b, v29
	v_fma_f16 v25, v52, 0xb5ac, -v41
	v_fmamk_f16 v27, v22, 0xbbc4, v43
	v_pk_add_f16 v23, v0, v11
	v_mul_f16_sdwa v36, v21, v80 dst_sel:DWORD dst_unused:UNUSED_PAD src0_sel:WORD_1 src1_sel:DWORD
	v_add_f16_sdwa v17, v17, v4 dst_sel:DWORD dst_unused:UNUSED_PAD src0_sel:DWORD src1_sel:WORD_1
	v_fma_f16 v28, v52, 0xbbc4, -v51
	v_add_f16_e32 v12, v24, v12
	v_add_f16_e32 v13, v25, v13
	;; [unrolled: 1-line block ×3, first 2 shown]
	v_fmamk_f16 v27, v23, 0x2fb7, v36
	v_mov_b32_e32 v25, 0x3b7b
	v_lshrrev_b32_e32 v54, 16, v23
	v_pk_add_f16 v24, v8, v3 neg_lo:[0,1] neg_hi:[0,1]
	v_mov_b32_e32 v78, 0xbb7b
	v_mul_f16_e32 v46, 0xb3a8, v21
	v_mul_f16_e32 v55, 0x3b7b, v21
	v_add_f16_e32 v17, v28, v17
	v_mul_f16_sdwa v50, v21, v25 dst_sel:DWORD dst_unused:UNUSED_PAD src0_sel:WORD_1 src1_sel:DWORD
	v_pk_add_f16 v25, v3, v8
	v_mul_f16_sdwa v39, v24, v78 dst_sel:DWORD dst_unused:UNUSED_PAD src0_sel:WORD_1 src1_sel:DWORD
	v_fma_f16 v28, v54, 0xbbc4, -v46
	v_add_f16_e32 v12, v27, v12
	v_fma_f16 v27, v54, 0xb5ac, -v55
	v_mov_b32_e32 v79, 0x3770
	v_fmamk_f16 v30, v23, 0xb5ac, v50
	v_fmamk_f16 v34, v25, 0xb5ac, v39
	v_add_f16_e32 v13, v28, v13
	v_add_f16_e32 v17, v27, v17
	v_lshrrev_b32_e32 v59, 16, v25
	v_mul_f16_e32 v45, 0x394e, v24
	v_mul_f16_sdwa v53, v24, v79 dst_sel:DWORD dst_unused:UNUSED_PAD src0_sel:WORD_1 src1_sel:DWORD
	v_mul_f16_e32 v57, 0x3770, v24
	v_pk_add_f16 v27, v9, v2 neg_lo:[0,1] neg_hi:[0,1]
	v_pk_add_f16 v28, v2, v9
	v_add_f16_e32 v15, v30, v15
	v_add_f16_e32 v12, v34, v12
	v_fma_f16 v30, v59, 0xb9fd, -v45
	v_fmamk_f16 v34, v25, 0x3b15, v53
	v_fma_f16 v35, v59, 0x3b15, -v57
	v_lshrrev_b32_e32 v65, 16, v28
	v_mul_f16_e32 v49, 0x3bf1, v27
	v_mul_f16_sdwa v56, v27, v77 dst_sel:DWORD dst_unused:UNUSED_PAD src0_sel:WORD_1 src1_sel:DWORD
	v_add_f16_e32 v13, v30, v13
	v_add_f16_e32 v15, v34, v15
	;; [unrolled: 1-line block ×3, first 2 shown]
	v_pk_add_f16 v30, v6, v7 neg_lo:[0,1] neg_hi:[0,1]
	v_fma_f16 v35, v65, 0x2fb7, -v49
	v_fmamk_f16 v58, v28, 0x388b, v56
	v_mul_f16_e32 v66, 0xba95, v27
	v_mov_b32_e32 v81, 0xb94e
	v_mul_f16_sdwa v48, v30, v33 dst_sel:DWORD dst_unused:UNUSED_PAD src0_sel:WORD_1 src1_sel:DWORD
	v_add_f16_e32 v13, v35, v13
	v_add_f16_e32 v33, v58, v15
	v_fma_f16 v15, v65, 0x388b, -v66
	v_pk_mul_f16 v35, 0x3b15388b, v20
	v_pk_mul_f16 v68, 0x2fb7bbc4, v23
	v_mul_f16_sdwa v42, v27, v81 dst_sel:DWORD dst_unused:UNUSED_PAD src0_sel:WORD_1 src1_sel:DWORD
	v_pk_mul_f16 v70, 0xb5acb9fd, v25
	v_add_f16_e32 v17, v15, v17
	v_pk_mul_f16 v15, 0x388bb5ac, v22
	v_pk_fma_f16 v58, 0xba95b770, v18, v35 op_sel:[0,0,1] op_sel_hi:[1,1,0] neg_lo:[0,1,0] neg_hi:[0,1,0]
	v_pk_fma_f16 v62, 0xba95b770, v18, v35 op_sel:[0,0,1] op_sel_hi:[1,1,0]
	v_fmamk_f16 v34, v28, 0xb9fd, v42
	v_pk_add_f16 v37, v7, v6
	v_pk_fma_f16 v60, 0xbb7bba95, v19, v15 op_sel:[0,0,1] op_sel_hi:[1,1,0] neg_lo:[0,1,0] neg_hi:[0,1,0]
	v_add_f16_sdwa v64, v58, v4 dst_sel:DWORD dst_unused:UNUSED_PAD src0_sel:DWORD src1_sel:WORD_1
	v_pk_fma_f16 v63, 0xbb7bba95, v19, v15 op_sel:[0,0,1] op_sel_hi:[1,1,0]
	v_add_f16_sdwa v69, v62, v4 dst_sel:DWORD dst_unused:UNUSED_PAD src0_sel:WORD_1 src1_sel:DWORD
	v_pk_mul_f16 v72, 0xb9fd2fb7, v28
	s_clause 0x1
	s_load_dwordx2 s[6:7], s[4:5], 0x20
	s_load_dwordx2 s[2:3], s[4:5], 0x8
	v_add_f16_e32 v15, v60, v64
	v_pk_fma_f16 v64, 0xb3a8bbf1, v21, v68 op_sel:[0,0,1] op_sel_hi:[1,1,0] neg_lo:[0,1,0] neg_hi:[0,1,0]
	v_pk_fma_f16 v68, 0xb3a8bbf1, v21, v68 op_sel:[0,0,1] op_sel_hi:[1,1,0]
	v_add_f16_sdwa v71, v63, v69 dst_sel:DWORD dst_unused:UNUSED_PAD src0_sel:WORD_1 src1_sel:DWORD
	v_pk_fma_f16 v69, 0x394ebb7b, v24, v70 op_sel:[0,0,1] op_sel_hi:[1,1,0] neg_lo:[0,1,0] neg_hi:[0,1,0]
	v_pk_fma_f16 v70, 0x394ebb7b, v24, v70 op_sel:[0,0,1] op_sel_hi:[1,1,0]
	v_add_f16_e32 v15, v64, v15
	v_add_f16_e32 v12, v34, v12
	v_add_f16_sdwa v73, v68, v71 dst_sel:DWORD dst_unused:UNUSED_PAD src0_sel:WORD_1 src1_sel:DWORD
	v_fmamk_f16 v34, v37, 0xbbc4, v48
	v_lshrrev_b32_e32 v76, 16, v37
	v_mul_f16_e32 v61, 0x3770, v30
	v_mul_f16_sdwa v67, v30, v81 dst_sel:DWORD dst_unused:UNUSED_PAD src0_sel:WORD_1 src1_sel:DWORD
	v_mul_f16_e32 v75, 0xb94e, v30
	v_add_f16_e32 v15, v69, v15
	v_pk_fma_f16 v71, 0x3bf1b94e, v27, v72 op_sel:[0,0,1] op_sel_hi:[1,1,0] neg_lo:[0,1,0] neg_hi:[0,1,0]
	v_pk_mul_f16 v74, 0xbbc43b15, v37
	v_pk_fma_f16 v72, 0x3bf1b94e, v27, v72 op_sel:[0,0,1] op_sel_hi:[1,1,0]
	v_add_f16_sdwa v82, v70, v73 dst_sel:DWORD dst_unused:UNUSED_PAD src0_sel:WORD_1 src1_sel:DWORD
	v_add_f16_e32 v34, v34, v12
	v_fma_f16 v12, v76, 0x3b15, -v61
	v_fmamk_f16 v35, v37, 0xb9fd, v67
	v_fma_f16 v83, v76, 0xb9fd, -v75
	v_add_f16_e32 v84, v71, v15
	v_pk_fma_f16 v73, 0x3770b3a8, v30, v74 op_sel:[0,0,1] op_sel_hi:[1,1,0] neg_lo:[0,1,0] neg_hi:[0,1,0]
	v_pk_fma_f16 v74, 0x3770b3a8, v30, v74 op_sel:[0,0,1] op_sel_hi:[1,1,0]
	v_add_f16_sdwa v82, v72, v82 dst_sel:DWORD dst_unused:UNUSED_PAD src0_sel:WORD_1 src1_sel:DWORD
	v_add_f16_e32 v15, v12, v13
	v_add_f16_e32 v12, v35, v33
	v_add_f16_e32 v13, v83, v17
	v_add_f16_e32 v35, v73, v84
	v_add_f16_sdwa v17, v74, v82 dst_sel:DWORD dst_unused:UNUSED_PAD src0_sel:WORD_1 src1_sel:DWORD
	v_mul_lo_u16 v33, v32, 13
	s_waitcnt lgkmcnt(0)
	s_barrier
	buffer_gl0_inv
	s_and_saveexec_b32 s0, vcc_lo
	s_cbranch_execz .LBB0_7
; %bb.6:
	v_mul_f16_e32 v82, 0xb5ac, v47
	v_mul_f16_sdwa v83, v18, v78 dst_sel:DWORD dst_unused:UNUSED_PAD src0_sel:WORD_1 src1_sel:DWORD
	v_mov_b32_e32 v84, 0x394e
	v_mul_f16_e32 v85, 0xb9fd, v52
	v_mul_f16_e32 v86, 0x3b15, v54
	v_fmamk_f16 v87, v18, 0x3b7b, v82
	v_fmamk_f16 v88, v20, 0xb5ac, v83
	v_mul_f16_sdwa v84, v19, v84 dst_sel:DWORD dst_unused:UNUSED_PAD src0_sel:WORD_1 src1_sel:DWORD
	v_mul_f16_sdwa v89, v21, v79 dst_sel:DWORD dst_unused:UNUSED_PAD src0_sel:WORD_1 src1_sel:DWORD
	v_fmamk_f16 v90, v19, 0xb94e, v85
	v_add_f16_sdwa v87, v87, v4 dst_sel:DWORD dst_unused:UNUSED_PAD src0_sel:DWORD src1_sel:WORD_1
	v_add_f16_e32 v88, v88, v4
	v_fmamk_f16 v91, v22, 0xb9fd, v84
	v_mul_f16_e32 v92, 0x2fb7, v59
	v_fmamk_f16 v93, v21, 0xb770, v86
	v_add_f16_e32 v87, v90, v87
	v_fmamk_f16 v90, v23, 0x3b15, v89
	v_add_f16_e32 v88, v91, v88
	v_mul_f16_sdwa v80, v24, v80 dst_sel:DWORD dst_unused:UNUSED_PAD src0_sel:WORD_1 src1_sel:DWORD
	v_fmamk_f16 v91, v24, 0x3bf1, v92
	v_add_f16_e32 v87, v93, v87
	v_mul_f16_e32 v93, 0xbbc4, v65
	v_add_f16_e32 v88, v90, v88
	v_fmamk_f16 v90, v25, 0x2fb7, v80
	v_mul_f16_e32 v94, 0xb9fd, v47
	v_add_f16_e32 v87, v91, v87
	v_fmamk_f16 v91, v27, 0xb3a8, v93
	;; [unrolled: 3-line block ×3, first 2 shown]
	v_mov_b32_e32 v95, 0x33a8
	v_add_f16_e32 v87, v91, v87
	v_mul_f16_e32 v91, 0x388b, v76
	v_fmamk_f16 v98, v19, 0xbbf1, v96
	v_add_f16_sdwa v90, v90, v4 dst_sel:DWORD dst_unused:UNUSED_PAD src0_sel:DWORD src1_sel:WORD_1
	v_mul_f16_e32 v99, 0x388b, v54
	v_mul_f16_sdwa v97, v27, v95 dst_sel:DWORD dst_unused:UNUSED_PAD src0_sel:WORD_1 src1_sel:DWORD
	v_fmamk_f16 v101, v30, 0xba95, v91
	v_mov_b32_e32 v102, 0x3a95
	v_add_f16_e32 v90, v98, v90
	v_fmamk_f16 v98, v21, 0x3a95, v99
	v_fmamk_f16 v100, v28, 0xbbc4, v97
	v_add_f16_e32 v87, v101, v87
	v_mul_f16_sdwa v101, v30, v102 dst_sel:DWORD dst_unused:UNUSED_PAD src0_sel:WORD_1 src1_sel:DWORD
	v_mul_f16_sdwa v81, v18, v81 dst_sel:DWORD dst_unused:UNUSED_PAD src0_sel:WORD_1 src1_sel:DWORD
	v_add_f16_e32 v90, v98, v90
	v_mov_b32_e32 v98, 0x3bf1
	v_add_f16_e32 v88, v100, v88
	v_fmamk_f16 v104, v37, 0x388b, v101
	v_fmamk_f16 v105, v20, 0xb9fd, v81
	v_fma_f16 v81, v20, 0xb9fd, -v81
	v_mul_f16_sdwa v98, v19, v98 dst_sel:DWORD dst_unused:UNUSED_PAD src0_sel:WORD_1 src1_sel:DWORD
	v_mul_f16_sdwa v77, v21, v77 dst_sel:DWORD dst_unused:UNUSED_PAD src0_sel:WORD_1 src1_sel:DWORD
	v_add_f16_e32 v88, v104, v88
	v_add_f16_e32 v104, v105, v4
	;; [unrolled: 1-line block ×3, first 2 shown]
	v_fmamk_f16 v105, v22, 0x2fb7, v98
	v_fma_f16 v98, v22, 0x2fb7, -v98
	v_fmac_f16_e32 v94, 0xb94e, v18
	v_mul_f16_sdwa v95, v24, v95 dst_sel:DWORD dst_unused:UNUSED_PAD src0_sel:WORD_1 src1_sel:DWORD
	v_fmac_f16_e32 v96, 0x3bf1, v19
	v_add_f16_e32 v104, v105, v104
	v_fmamk_f16 v105, v23, 0x388b, v77
	v_add_f16_e32 v81, v98, v81
	v_fma_f16 v77, v23, 0x388b, -v77
	v_add_f16_sdwa v94, v94, v4 dst_sel:DWORD dst_unused:UNUSED_PAD src0_sel:DWORD src1_sel:WORD_1
	v_mul_f16_sdwa v79, v27, v79 dst_sel:DWORD dst_unused:UNUSED_PAD src0_sel:WORD_1 src1_sel:DWORD
	v_add_f16_e32 v104, v105, v104
	v_fmamk_f16 v105, v25, 0xbbc4, v95
	v_fmac_f16_e32 v82, 0xbb7b, v18
	v_add_f16_e32 v77, v77, v81
	v_fma_f16 v81, v25, 0xbbc4, -v95
	v_add_f16_e32 v94, v96, v94
	v_add_f16_e32 v96, v105, v104
	v_fmamk_f16 v104, v28, 0x3b15, v79
	v_add_f16_sdwa v82, v82, v4 dst_sel:DWORD dst_unused:UNUSED_PAD src0_sel:DWORD src1_sel:WORD_1
	v_fmac_f16_e32 v85, 0x394e, v19
	v_add_f16_e32 v77, v81, v77
	v_fma_f16 v79, v28, 0x3b15, -v79
	v_mul_f16_sdwa v78, v30, v78 dst_sel:DWORD dst_unused:UNUSED_PAD src0_sel:WORD_1 src1_sel:DWORD
	v_fmac_f16_e32 v86, 0x3770, v21
	v_add_f16_e32 v82, v85, v82
	v_fmac_f16_e32 v92, 0xbbf1, v24
	v_add_f16_e32 v77, v79, v77
	v_alignbit_b32 v79, v4, v4, 16
	v_fmamk_f16 v98, v37, 0xb5ac, v78
	v_add_f16_e32 v82, v86, v82
	v_fma_f16 v78, v37, 0xb5ac, -v78
	v_fma_f16 v83, v20, 0xb5ac, -v83
	v_pk_add_f16 v5, v5, v79 op_sel:[0,1] op_sel_hi:[1,0]
	v_fmac_f16_e32 v93, 0x33a8, v27
	v_add_f16_e32 v82, v92, v82
	v_add_f16_e32 v77, v78, v77
	v_mul_f16_e32 v78, 0x388b, v47
	v_add_f16_e32 v83, v83, v4
	v_fma_f16 v84, v22, 0xb9fd, -v84
	v_mul_f16_e32 v47, 0x2fb7, v47
	v_pk_add_f16 v5, v10, v5
	v_mul_f16_e32 v86, 0x3b15, v20
	v_add_f16_e32 v82, v93, v82
	v_fmac_f16_e32 v91, 0x3a95, v30
	v_mul_f16_e32 v92, 0x2fb7, v20
	v_add_f16_e32 v83, v84, v83
	v_fma_f16 v84, v23, 0x3b15, -v89
	v_mul_f16_e32 v89, 0xb5ac, v52
	v_add_f16_e32 v44, v44, v47
	v_mul_f16_e32 v52, 0xbbc4, v52
	v_add_f16_e32 v38, v38, v78
	v_pk_add_f16 v5, v11, v5
	v_add_f16_e32 v82, v91, v82
	v_mul_f16_e32 v91, 0x388b, v22
	v_add_f16_sdwa v44, v44, v4 dst_sel:DWORD dst_unused:UNUSED_PAD src0_sel:DWORD src1_sel:WORD_1
	v_add_f16_e32 v51, v51, v52
	v_mul_f16_e32 v52, 0xbbc4, v54
	v_mul_f16_e32 v54, 0xb5ac, v54
	v_sub_f16_e32 v40, v92, v40
	v_add_f16_sdwa v38, v38, v4 dst_sel:DWORD dst_unused:UNUSED_PAD src0_sel:DWORD src1_sel:WORD_1
	v_add_f16_e32 v41, v41, v89
	v_sub_f16_e32 v26, v86, v26
	v_pk_add_f16 v5, v8, v5
	v_mul_f16_e32 v47, 0xbbc4, v22
	v_add_f16_e32 v83, v84, v83
	v_mul_f16_e32 v84, 0x2fb7, v23
	v_fma_f16 v80, v25, 0x2fb7, -v80
	v_add_f16_e32 v44, v51, v44
	v_add_f16_e32 v54, v55, v54
	v_mul_f16_e32 v55, 0xb9fd, v59
	v_add_f16_e32 v40, v40, v4
	v_add_f16_e32 v38, v41, v38
	v_add_f16_e32 v41, v46, v52
	v_add_f16_e32 v4, v26, v4
	v_sub_f16_e32 v26, v91, v29
	v_pk_add_f16 v5, v9, v5
	v_add_f16_e32 v80, v80, v83
	v_mul_f16_e32 v51, 0xb5ac, v25
	v_fma_f16 v93, v28, 0xbbc4, -v97
	v_add_f16_e32 v44, v54, v44
	v_mul_f16_e32 v54, 0x2fb7, v65
	v_sub_f16_e32 v43, v47, v43
	v_add_f16_e32 v38, v41, v38
	v_add_f16_e32 v41, v45, v55
	;; [unrolled: 1-line block ×3, first 2 shown]
	v_sub_f16_e32 v8, v84, v36
	v_pk_add_f16 v5, v6, v5
	v_mul_f16_e32 v100, 0xbbc4, v59
	v_mul_f16_e32 v59, 0x3b15, v59
	v_add_f16_e32 v80, v93, v80
	v_mul_f16_e32 v93, 0xb9fd, v28
	v_add_f16_e32 v40, v43, v40
	;; [unrolled: 2-line block ×3, first 2 shown]
	v_add_f16_e32 v38, v49, v54
	v_add_f16_e32 v4, v8, v4
	v_sub_f16_e32 v8, v51, v39
	v_pk_add_f16 v5, v7, v5
	v_add_f16_e32 v57, v57, v59
	v_mul_f16_e32 v59, 0xbbc4, v37
	v_add_f16_e32 v10, v38, v10
	v_add_f16_e32 v29, v61, v43
	v_bfi_b32 v9, 0xffff, v62, v58
	v_add_f16_e32 v4, v8, v4
	v_sub_f16_e32 v8, v93, v42
	v_pk_add_f16 v2, v2, v5
	v_add_f16_e32 v10, v29, v10
	v_bfi_b32 v29, 0xffff, v63, v60
	v_mov_b32_e32 v5, 2
	v_add_f16_e32 v4, v8, v4
	v_sub_f16_e32 v8, v59, v48
	v_pk_add_f16 v9, v9, v79
	v_pk_mul_f16 v20, 0xbbc4, v20 op_sel_hi:[0,1]
	v_pk_add_f16 v2, v3, v2
	v_fmamk_f16 v102, v24, 0xb3a8, v100
	v_mul_f16_e32 v103, 0x3b15, v65
	v_fmac_f16_e32 v99, 0xba95, v21
	v_mul_f16_e32 v83, 0xb5ac, v23
	v_bfi_b32 v6, 0xffff, v68, v64
	v_add_f16_e32 v4, v8, v4
	v_lshlrev_b32_sdwa v3, v5, v33 dst_sel:DWORD dst_unused:UNUSED_PAD src0_sel:DWORD src1_sel:WORD_0
	v_pk_add_f16 v5, v29, v9
	v_pk_fma_f16 v8, 0xb3a8, v18, v20 op_sel:[0,0,1] op_sel_hi:[0,1,0] neg_lo:[0,1,0] neg_hi:[0,1,0]
	v_pk_mul_f16 v9, 0x3b15, v22 op_sel_hi:[0,1]
	v_pk_add_f16 v0, v0, v2
	v_pk_fma_f16 v2, 0xb3a8, v18, v20 op_sel:[0,0,1] op_sel_hi:[0,1,0]
	v_add_f16_e32 v90, v102, v90
	v_fmamk_f16 v102, v27, 0xb770, v103
	v_add_f16_e32 v94, v99, v94
	v_fmac_f16_e32 v100, 0x33a8, v24
	v_mul_f16_e32 v92, 0x3b15, v25
	v_sub_f16_e32 v50, v83, v50
	v_bfi_b32 v36, 0xffff, v70, v69
	v_pk_add_f16 v5, v6, v5
	v_pk_add_f16 v6, v8, v79
	v_pk_fma_f16 v8, 0x3770, v19, v9 op_sel:[0,0,1] op_sel_hi:[0,1,0] neg_lo:[0,1,0] neg_hi:[0,1,0]
	v_pk_mul_f16 v18, 0xb9fd, v23 op_sel_hi:[0,1]
	v_pk_add_f16 v2, v2, v79
	v_pk_fma_f16 v9, 0x3770, v19, v9 op_sel:[0,0,1] op_sel_hi:[0,1,0]
	v_add_f16_e32 v90, v102, v90
	v_mul_f16_e32 v102, 0xb5ac, v76
	v_add_f16_e32 v94, v100, v94
	v_fmac_f16_e32 v103, 0x3770, v27
	v_mul_f16_e32 v47, 0x388b, v28
	v_mul_f16_e32 v65, 0x388b, v65
	v_add_f16_e32 v40, v50, v40
	v_sub_f16_e32 v50, v92, v53
	v_bfi_b32 v7, 0xffff, v72, v71
	v_pk_add_f16 v5, v36, v5
	v_pk_add_f16 v6, v8, v6
	v_pk_fma_f16 v8, 0xb94e, v21, v18 op_sel:[0,0,1] op_sel_hi:[0,1,0] neg_lo:[0,1,0] neg_hi:[0,1,0]
	v_pk_mul_f16 v19, 0x388b, v25 op_sel_hi:[0,1]
	v_pk_add_f16 v2, v9, v2
	v_pk_fma_f16 v9, 0xb94e, v21, v18 op_sel:[0,0,1] op_sel_hi:[0,1,0]
	v_fmamk_f16 v106, v30, 0x3b7b, v102
	v_add_f16_e32 v94, v103, v94
	v_fmac_f16_e32 v102, 0xbb7b, v30
	v_mul_f16_e32 v78, 0xb9fd, v37
	v_mul_f16_e32 v76, 0xb9fd, v76
	v_add_f16_e32 v44, v57, v44
	v_add_f16_e32 v57, v66, v65
	;; [unrolled: 1-line block ×3, first 2 shown]
	v_sub_f16_e32 v47, v47, v56
	v_pk_add_f16 v5, v7, v5
	v_pk_add_f16 v6, v8, v6
	v_pk_fma_f16 v7, 0x3a95, v24, v19 op_sel:[0,0,1] op_sel_hi:[0,1,0] neg_lo:[0,1,0] neg_hi:[0,1,0]
	v_pk_mul_f16 v8, 0xb5ac, v28 op_sel_hi:[0,1]
	v_pk_add_f16 v2, v9, v2
	v_pk_fma_f16 v9, 0x3a95, v24, v19 op_sel:[0,0,1] op_sel_hi:[0,1,0]
	v_bfi_b32 v38, 0xffff, v74, v73
	v_add_f16_e32 v85, v102, v94
	v_fma_f16 v94, v37, 0x388b, -v101
	v_add_f16_e32 v44, v57, v44
	v_add_f16_e32 v45, v75, v76
	;; [unrolled: 1-line block ×3, first 2 shown]
	v_sub_f16_e32 v11, v78, v67
	v_pk_add_f16 v6, v7, v6
	v_pk_fma_f16 v7, 0xbb7b, v27, v8 op_sel:[0,0,1] op_sel_hi:[0,1,0] neg_lo:[0,1,0] neg_hi:[0,1,0]
	v_pk_mul_f16 v18, 0x2fb7, v37 op_sel_hi:[0,1]
	v_pk_add_f16 v2, v9, v2
	v_pk_fma_f16 v8, 0xbb7b, v27, v8 op_sel:[0,0,1] op_sel_hi:[0,1,0]
	v_pk_add_f16 v5, v38, v5
	v_add_f16_e32 v46, v94, v80
	v_add_f16_e32 v26, v45, v44
	;; [unrolled: 1-line block ×3, first 2 shown]
	v_pk_add_f16 v6, v7, v6
	v_pk_fma_f16 v7, 0x3bf1, v30, v18 op_sel:[0,0,1] op_sel_hi:[0,1,0] neg_lo:[0,1,0] neg_hi:[0,1,0]
	v_pk_add_f16 v2, v8, v2
	v_pk_fma_f16 v8, 0x3bf1, v30, v18 op_sel:[0,0,1] op_sel_hi:[0,1,0]
	v_add_f16_e32 v96, v104, v96
	v_pk_add_f16 v0, v1, v0
	v_alignbit_b32 v1, v10, v5, 16
	v_pack_b32_f16 v4, v4, v5
	v_pack_b32_f16 v5, v11, v26
	;; [unrolled: 1-line block ×3, first 2 shown]
	v_pk_add_f16 v6, v7, v6
	v_pk_add_f16 v2, v8, v2
	v_add_f16_e32 v90, v106, v90
	v_add_f16_e32 v81, v98, v96
	v_pk_add_f16 v0, v14, v0
	ds_write2_b32 v3, v4, v1 offset0:1 offset1:2
	ds_write2_b32 v3, v5, v9 offset0:3 offset1:4
	v_pack_b32_f16 v1, v77, v85
	v_alignbit_b32 v4, v6, v2, 16
	v_alignbit_b32 v2, v2, v6, 16
	v_pack_b32_f16 v5, v88, v87
	v_pack_b32_f16 v6, v81, v90
	v_perm_b32 v7, v15, v17, 0x5040100
	v_perm_b32 v8, v13, v12, 0x5040100
	;; [unrolled: 1-line block ×3, first 2 shown]
	ds_write2_b32 v3, v0, v1 offset1:5
	ds_write2_b32 v3, v2, v4 offset0:6 offset1:7
	ds_write2_b32 v3, v6, v5 offset0:8 offset1:9
	;; [unrolled: 1-line block ×3, first 2 shown]
	ds_write_b32 v3, v9 offset:48
.LBB0_7:
	s_or_b32 exec_lo, exec_lo, s0
	v_add_nc_u32_e32 v0, 0x980, v31
	v_add_nc_u32_e32 v2, 0xf00, v31
	;; [unrolled: 1-line block ×4, first 2 shown]
	s_waitcnt lgkmcnt(0)
	s_barrier
	buffer_gl0_inv
	ds_read2_b32 v[4:5], v31 offset1:156
	ds_read2_b32 v[0:1], v0 offset0:16 offset1:250
	ds_read2_b32 v[8:9], v2 offset0:54 offset1:210
	;; [unrolled: 1-line block ×4, first 2 shown]
	v_cmp_gt_u16_e64 s0, 0x4e, v32
	s_and_saveexec_b32 s1, s0
	s_cbranch_execz .LBB0_9
; %bb.8:
	ds_read_b32 v12, v31 offset:3120
	ds_read_b32 v17, v31 offset:6552
	s_waitcnt lgkmcnt(1)
	v_lshrrev_b32_e32 v13, 16, v12
	s_waitcnt lgkmcnt(0)
	v_lshrrev_b32_e32 v15, 16, v17
.LBB0_9:
	s_or_b32 exec_lo, exec_lo, s1
	v_and_b32_e32 v10, 0xff, v32
	v_add_co_u32 v14, null, 0x138, v32
	v_add_nc_u16 v11, v32, 0x9c
	v_mov_b32_e32 v19, 0x4ec5
	v_mul_lo_u16 v10, 0x4f, v10
	v_add_co_u32 v18, null, 0x1d4, v32
	v_add_co_u32 v20, null, 0x270, v32
	v_lshrrev_b16 v21, 10, v10
	v_mul_u32_u24_sdwa v23, v11, v19 dst_sel:DWORD dst_unused:UNUSED_PAD src0_sel:WORD_0 src1_sel:DWORD
	v_mul_u32_u24_sdwa v24, v14, v19 dst_sel:DWORD dst_unused:UNUSED_PAD src0_sel:WORD_0 src1_sel:DWORD
	v_add_nc_u16 v22, v32, 0x30c
	v_mul_u32_u24_sdwa v26, v18, v19 dst_sel:DWORD dst_unused:UNUSED_PAD src0_sel:WORD_0 src1_sel:DWORD
	v_mul_lo_u16 v25, v21, 13
	v_mul_u32_u24_sdwa v27, v20, v19 dst_sel:DWORD dst_unused:UNUSED_PAD src0_sel:WORD_0 src1_sel:DWORD
	v_lshrrev_b32_e32 v23, 18, v23
	v_lshrrev_b32_e32 v24, 18, v24
	v_mul_u32_u24_sdwa v19, v22, v19 dst_sel:DWORD dst_unused:UNUSED_PAD src0_sel:WORD_0 src1_sel:DWORD
	v_sub_nc_u16 v25, v32, v25
	v_lshrrev_b32_e32 v26, 18, v26
	v_lshrrev_b32_e32 v27, 18, v27
	v_mul_lo_u16 v28, v23, 13
	v_mul_lo_u16 v29, v24, 13
	v_lshrrev_b32_e32 v19, 18, v19
	v_and_b32_e32 v25, 0xff, v25
	v_mul_lo_u16 v30, v26, 13
	v_mov_b32_e32 v10, 2
	v_sub_nc_u16 v28, v11, v28
	v_sub_nc_u16 v14, v14, v29
	v_mul_lo_u16 v29, v27, 13
	v_mul_lo_u16 v37, v19, 13
	v_lshlrev_b32_e32 v36, 2, v25
	v_sub_nc_u16 v18, v18, v30
	v_lshlrev_b32_sdwa v38, v10, v28 dst_sel:DWORD dst_unused:UNUSED_PAD src0_sel:DWORD src1_sel:WORD_0
	v_lshlrev_b32_sdwa v30, v10, v14 dst_sel:DWORD dst_unused:UNUSED_PAD src0_sel:DWORD src1_sel:WORD_0
	v_sub_nc_u16 v20, v20, v29
	v_sub_nc_u16 v22, v22, v37
	s_clause 0x1
	global_load_dword v49, v36, s[2:3]
	global_load_dword v48, v38, s[2:3]
	v_lshlrev_b32_sdwa v29, v10, v18 dst_sel:DWORD dst_unused:UNUSED_PAD src0_sel:DWORD src1_sel:WORD_0
	global_load_dword v41, v30, s[2:3]
	v_lshlrev_b32_sdwa v36, v10, v20 dst_sel:DWORD dst_unused:UNUSED_PAD src0_sel:DWORD src1_sel:WORD_0
	v_lshlrev_b32_sdwa v30, v10, v22 dst_sel:DWORD dst_unused:UNUSED_PAD src0_sel:DWORD src1_sel:WORD_0
	s_clause 0x2
	global_load_dword v42, v29, s[2:3]
	global_load_dword v39, v36, s[2:3]
	;; [unrolled: 1-line block ×3, first 2 shown]
	v_mov_b32_e32 v40, 26
	s_waitcnt lgkmcnt(3)
	v_lshrrev_b32_e32 v30, 16, v1
	v_mad_u16 v14, v24, 26, v14
	v_mad_u16 v18, v26, 26, v18
	s_waitcnt lgkmcnt(2)
	v_lshrrev_b32_e32 v38, 16, v8
	v_mad_u16 v20, v27, 26, v20
	v_lshrrev_b32_e32 v51, 16, v9
	v_mul_u32_u24_sdwa v21, v21, v40 dst_sel:DWORD dst_unused:UNUSED_PAD src0_sel:WORD_0 src1_sel:DWORD
	s_waitcnt lgkmcnt(0)
	v_lshrrev_b32_e32 v53, 16, v6
	v_mad_u16 v23, v23, 26, v28
	v_lshrrev_b32_e32 v55, 16, v7
	v_lshlrev_b32_sdwa v45, v10, v14 dst_sel:DWORD dst_unused:UNUSED_PAD src0_sel:DWORD src1_sel:WORD_0
	v_lshlrev_b32_sdwa v46, v10, v18 dst_sel:DWORD dst_unused:UNUSED_PAD src0_sel:DWORD src1_sel:WORD_0
	v_mad_u16 v40, v19, 26, v22
	v_lshlrev_b32_sdwa v47, v10, v20 dst_sel:DWORD dst_unused:UNUSED_PAD src0_sel:DWORD src1_sel:WORD_0
	v_add_lshl_u32 v43, v21, v25, 2
	v_lshlrev_b32_sdwa v44, v10, v23 dst_sel:DWORD dst_unused:UNUSED_PAD src0_sel:DWORD src1_sel:WORD_0
	s_load_dwordx4 s[4:7], s[6:7], 0x0
	v_lshrrev_b32_e32 v29, 16, v4
	v_lshrrev_b32_e32 v36, 16, v5
	;; [unrolled: 1-line block ×5, first 2 shown]
	s_waitcnt vmcnt(0) lgkmcnt(0)
	s_barrier
	buffer_gl0_inv
	v_mul_f16_sdwa v14, v30, v49 dst_sel:DWORD dst_unused:UNUSED_PAD src0_sel:DWORD src1_sel:WORD_1
	v_mul_f16_sdwa v18, v1, v49 dst_sel:DWORD dst_unused:UNUSED_PAD src0_sel:DWORD src1_sel:WORD_1
	;; [unrolled: 1-line block ×12, first 2 shown]
	v_fma_f16 v1, v1, v49, -v14
	v_fmac_f16_e32 v18, v30, v49
	v_fma_f16 v8, v8, v48, -v19
	v_fmac_f16_e32 v20, v38, v48
	;; [unrolled: 2-line block ×6, first 2 shown]
	v_sub_f16_e32 v1, v4, v1
	v_sub_f16_e32 v23, v29, v18
	;; [unrolled: 1-line block ×12, first 2 shown]
	v_fma_f16 v4, v4, 2.0, -v1
	v_fma_f16 v6, v29, 2.0, -v23
	;; [unrolled: 1-line block ×12, first 2 shown]
	v_pack_b32_f16 v0, v1, v23
	v_pack_b32_f16 v4, v4, v6
	;; [unrolled: 1-line block ×10, first 2 shown]
	ds_write2_b32 v43, v4, v0 offset1:13
	ds_write2_b32 v44, v5, v1 offset1:13
	;; [unrolled: 1-line block ×5, first 2 shown]
	s_and_saveexec_b32 s1, s0
	s_cbranch_execz .LBB0_11
; %bb.10:
	v_lshlrev_b32_sdwa v0, v10, v40 dst_sel:DWORD dst_unused:UNUSED_PAD src0_sel:DWORD src1_sel:WORD_0
	v_perm_b32 v1, v13, v12, 0x5040100
	v_perm_b32 v2, v21, v17, 0x5040100
	ds_write2_b32 v0, v1, v2 offset1:13
.LBB0_11:
	s_or_b32 exec_lo, exec_lo, s1
	s_waitcnt lgkmcnt(0)
	s_barrier
	buffer_gl0_inv
	ds_read_b32 v10, v31
	ds_read_b32 v27, v31 offset:1144
	ds_read_b32 v26, v31 offset:2288
	;; [unrolled: 1-line block ×5, first 2 shown]
	v_cmp_gt_u16_e64 s1, 0x82, v32
	s_and_saveexec_b32 s8, s1
	s_cbranch_execz .LBB0_13
; %bb.12:
	ds_read_b32 v8, v31 offset:624
	ds_read_b32 v14, v31 offset:1768
	;; [unrolled: 1-line block ×6, first 2 shown]
	s_waitcnt lgkmcnt(5)
	v_lshrrev_b32_e32 v9, 16, v8
	s_waitcnt lgkmcnt(4)
	v_lshrrev_b32_e32 v20, 16, v14
	;; [unrolled: 2-line block ×6, first 2 shown]
.LBB0_13:
	s_or_b32 exec_lo, exec_lo, s8
	v_and_b32_e32 v0, 0xff, v32
	v_mov_b32_e32 v1, 0x4ec5
	s_waitcnt lgkmcnt(3)
	v_lshrrev_b32_e32 v55, 16, v26
	s_waitcnt lgkmcnt(2)
	v_lshrrev_b32_e32 v56, 16, v25
	;; [unrolled: 2-line block ×3, first 2 shown]
	v_mul_lo_u16 v0, 0x4f, v0
	s_waitcnt lgkmcnt(0)
	v_lshrrev_b32_e32 v58, 16, v23
	v_lshrrev_b32_e32 v54, 16, v27
	;; [unrolled: 1-line block ×3, first 2 shown]
	v_lshrrev_b16 v30, 11, v0
	v_mul_u32_u24_sdwa v0, v11, v1 dst_sel:DWORD dst_unused:UNUSED_PAD src0_sel:WORD_0 src1_sel:DWORD
	v_mul_lo_u16 v1, v30, 26
	v_lshrrev_b32_e32 v38, 19, v0
	v_sub_nc_u16 v0, v32, v1
	v_mul_lo_u16 v1, v38, 26
	v_and_b32_e32 v51, 0xff, v0
	v_sub_nc_u16 v11, v11, v1
	v_mad_u64_u32 v[0:1], null, v51, 20, s[2:3]
	v_mul_lo_u16 v2, v11, 20
	v_mad_u16 v38, 0x9c, v38, v11
	v_and_b32_e32 v2, 0xffff, v2
	global_load_dwordx4 v[4:7], v[0:1], off offset:52
	v_add_co_u32 v28, s8, s2, v2
	v_add_co_ci_u32_e64 v29, null, s3, 0, s8
	s_clause 0x2
	global_load_dword v50, v[0:1], off offset:68
	global_load_dwordx4 v[0:3], v[28:29], off offset:52
	global_load_dword v36, v[28:29], off offset:68
	v_mov_b32_e32 v28, 0x9c
	s_waitcnt vmcnt(0)
	s_barrier
	buffer_gl0_inv
	v_mul_u32_u24_sdwa v28, v30, v28 dst_sel:DWORD dst_unused:UNUSED_PAD src0_sel:WORD_0 src1_sel:DWORD
	v_add_lshl_u32 v51, v28, v51, 2
	v_mul_f16_sdwa v60, v27, v4 dst_sel:DWORD dst_unused:UNUSED_PAD src0_sel:DWORD src1_sel:WORD_1
	v_mul_f16_sdwa v61, v55, v5 dst_sel:DWORD dst_unused:UNUSED_PAD src0_sel:DWORD src1_sel:WORD_1
	;; [unrolled: 1-line block ×16, first 2 shown]
	v_fmac_f16_e32 v60, v54, v4
	v_fma_f16 v26, v26, v5, -v61
	v_fmac_f16_e32 v62, v55, v5
	v_fma_f16 v25, v25, v6, -v63
	;; [unrolled: 2-line block ×4, first 2 shown]
	v_fmac_f16_e32 v68, v58, v50
	v_mul_f16_sdwa v69, v20, v0 dst_sel:DWORD dst_unused:UNUSED_PAD src0_sel:DWORD src1_sel:WORD_1
	v_mul_f16_sdwa v28, v14, v0 dst_sel:DWORD dst_unused:UNUSED_PAD src0_sel:DWORD src1_sel:WORD_1
	;; [unrolled: 1-line block ×4, first 2 shown]
	v_fma_f16 v59, v27, v4, -v59
	v_fmac_f16_e32 v30, v22, v1
	v_fma_f16 v15, v15, v2, -v71
	v_fmac_f16_e32 v53, v19, v2
	v_fmac_f16_e32 v11, v13, v3
	v_fma_f16 v13, v17, v36, -v73
	v_fmac_f16_e32 v29, v21, v36
	v_add_f16_e32 v19, v26, v54
	v_add_f16_e32 v22, v62, v66
	;; [unrolled: 1-line block ×4, first 2 shown]
	v_fma_f16 v14, v14, v0, -v69
	v_fmac_f16_e32 v28, v20, v0
	v_fma_f16 v18, v18, v1, -v70
	v_fma_f16 v12, v12, v3, -v72
	v_add_f16_e32 v17, v10, v26
	v_sub_f16_e32 v20, v62, v66
	v_add_f16_e32 v21, v52, v62
	v_sub_f16_e32 v57, v26, v54
	;; [unrolled: 2-line block ×4, first 2 shown]
	v_add_f16_e32 v67, v15, v13
	v_add_f16_e32 v69, v53, v29
	v_fmac_f16_e32 v10, -0.5, v19
	v_fmac_f16_e32 v52, -0.5, v22
	;; [unrolled: 1-line block ×4, first 2 shown]
	v_add_f16_e32 v25, v18, v12
	v_add_f16_e32 v65, v30, v11
	v_sub_f16_e32 v26, v53, v29
	v_sub_f16_e32 v27, v15, v13
	v_add_f16_e32 v17, v17, v54
	v_add_f16_e32 v21, v21, v66
	;; [unrolled: 1-line block ×4, first 2 shown]
	v_fma_f16 v55, -0.5, v67, v14
	v_fma_f16 v56, -0.5, v69, v28
	v_fmamk_f16 v58, v20, 0x3aee, v10
	v_fmac_f16_e32 v10, 0xbaee, v20
	v_fmamk_f16 v20, v57, 0xbaee, v52
	v_fmac_f16_e32 v52, 0x3aee, v57
	;; [unrolled: 2-line block ×4, first 2 shown]
	v_fma_f16 v19, -0.5, v25, v8
	v_fma_f16 v25, -0.5, v65, v9
	v_add_f16_e32 v62, v17, v22
	v_add_f16_e32 v63, v21, v54
	v_sub_f16_e32 v22, v17, v22
	v_sub_f16_e32 v54, v21, v54
	v_fmamk_f16 v64, v26, 0xbaee, v55
	v_fmamk_f16 v65, v27, 0x3aee, v56
	v_mul_f16_e32 v66, 0x3aee, v61
	v_mul_f16_e32 v67, -0.5, v59
	v_mul_f16_e32 v68, 0xbaee, v57
	v_mul_f16_e32 v69, -0.5, v60
	v_sub_f16_e32 v23, v30, v11
	v_sub_f16_e32 v24, v18, v12
	v_pack_b32_f16 v62, v62, v63
	v_pack_b32_f16 v63, v22, v54
	v_mul_f16_e32 v22, -0.5, v64
	v_mul_f16_e32 v54, -0.5, v65
	v_fmac_f16_e32 v66, 0.5, v57
	v_fmac_f16_e32 v67, 0x3aee, v60
	v_fmac_f16_e32 v68, 0.5, v61
	v_fmac_f16_e32 v69, 0xbaee, v59
	v_fmamk_f16 v17, v23, 0xbaee, v19
	v_fmamk_f16 v21, v24, 0x3aee, v25
	v_fmac_f16_e32 v22, 0x3aee, v65
	v_fmac_f16_e32 v54, 0xbaee, v64
	v_add_f16_e32 v57, v58, v66
	v_add_f16_e32 v59, v10, v67
	;; [unrolled: 1-line block ×4, first 2 shown]
	v_sub_f16_e32 v10, v10, v67
	v_sub_f16_e32 v52, v52, v69
	;; [unrolled: 1-line block ×5, first 2 shown]
	v_pack_b32_f16 v57, v57, v60
	v_pack_b32_f16 v10, v10, v52
	v_sub_f16_e32 v52, v21, v54
	v_pack_b32_f16 v59, v59, v61
	v_pack_b32_f16 v58, v58, v64
	ds_write2_b32 v51, v62, v57 offset1:26
	ds_write2_b32 v51, v59, v63 offset0:52 offset1:78
	ds_write2_b32 v51, v58, v10 offset0:104 offset1:130
	s_and_saveexec_b32 s8, s1
	s_cbranch_execz .LBB0_15
; %bb.14:
	v_mul_f16_e32 v10, 0x3aee, v26
	v_mul_f16_e32 v26, 0x3aee, v27
	;; [unrolled: 1-line block ×3, first 2 shown]
	v_add_f16_e32 v27, v28, v53
	v_mul_f16_e32 v23, 0x3aee, v23
	v_add_f16_e32 v10, v10, v55
	v_sub_f16_e32 v26, v56, v26
	v_add_f16_e32 v9, v9, v30
	v_sub_f16_e32 v24, v25, v24
	v_add_f16_e32 v8, v8, v18
	v_mul_f16_e32 v25, 0x3aee, v10
	v_mul_f16_e32 v28, 0x3aee, v26
	v_add_f16_e32 v9, v9, v11
	v_add_f16_e32 v11, v27, v29
	v_add_f16_e32 v19, v23, v19
	v_fma_f16 v23, v26, 0.5, -v25
	v_fmac_f16_e32 v28, 0.5, v10
	v_add_f16_e32 v10, v14, v15
	v_add_f16_e32 v8, v8, v12
	v_sub_f16_e32 v14, v9, v11
	v_add_f16_e32 v12, v21, v54
	v_sub_f16_e32 v18, v19, v28
	v_add_f16_e32 v10, v10, v13
	v_add_f16_e32 v13, v24, v23
	;; [unrolled: 1-line block ×3, first 2 shown]
	v_mov_b32_e32 v11, 2
	v_add_f16_e32 v19, v19, v28
	v_add_f16_e32 v21, v8, v10
	;; [unrolled: 1-line block ×3, first 2 shown]
	v_sub_f16_e32 v8, v8, v10
	v_sub_f16_e32 v15, v24, v23
	v_lshlrev_b32_sdwa v10, v11, v38 dst_sel:DWORD dst_unused:UNUSED_PAD src0_sel:DWORD src1_sel:WORD_0
	v_pack_b32_f16 v9, v21, v9
	v_pack_b32_f16 v11, v19, v13
	;; [unrolled: 1-line block ×5, first 2 shown]
	v_perm_b32 v14, v52, v20, 0x5040100
	ds_write2_b32 v10, v9, v11 offset1:26
	ds_write2_b32 v10, v12, v8 offset0:52 offset1:78
	ds_write2_b32 v10, v13, v14 offset0:104 offset1:130
.LBB0_15:
	s_or_b32 exec_lo, exec_lo, s8
	v_mad_u64_u32 v[17:18], null, v32, 40, s[2:3]
	s_waitcnt lgkmcnt(0)
	s_barrier
	buffer_gl0_inv
	v_add_nc_u32_e32 v64, 0x400, v31
	v_add_nc_u32_e32 v23, 0xc00, v31
	;; [unrolled: 1-line block ×3, first 2 shown]
	s_clause 0x2
	global_load_dwordx4 v[12:15], v[17:18], off offset:572
	global_load_dwordx4 v[8:11], v[17:18], off offset:588
	global_load_dwordx2 v[17:18], v[17:18], off offset:604
	ds_read2_b32 v[21:22], v31 offset1:156
	v_add_nc_u32_e32 v53, 0x1500, v31
	ds_read_b32 v19, v31 offset:2496
	ds_read2_b32 v[29:30], v64 offset0:56 offset1:212
	ds_read2_b32 v[27:28], v23 offset0:12 offset1:168
	;; [unrolled: 1-line block ×4, first 2 shown]
	v_add_nc_u32_e32 v65, 0xe00, v31
	v_add_nc_u32_e32 v66, 0x1200, v31
	s_waitcnt lgkmcnt(5)
	v_lshrrev_b32_e32 v53, 16, v22
	s_waitcnt lgkmcnt(4)
	v_lshrrev_b32_e32 v54, 16, v19
	;; [unrolled: 2-line block ×4, first 2 shown]
	v_lshrrev_b32_e32 v62, 16, v24
	v_lshrrev_b32_e32 v56, 16, v30
	;; [unrolled: 1-line block ×6, first 2 shown]
	s_waitcnt vmcnt(2)
	v_mul_f16_sdwa v63, v53, v12 dst_sel:DWORD dst_unused:UNUSED_PAD src0_sel:DWORD src1_sel:WORD_1
	v_mul_f16_sdwa v67, v22, v12 dst_sel:DWORD dst_unused:UNUSED_PAD src0_sel:DWORD src1_sel:WORD_1
	;; [unrolled: 1-line block ×5, first 2 shown]
	s_waitcnt vmcnt(0)
	v_mul_f16_sdwa v82, v61, v17 dst_sel:DWORD dst_unused:UNUSED_PAD src0_sel:DWORD src1_sel:WORD_1
	v_mul_f16_sdwa v84, v62, v18 dst_sel:DWORD dst_unused:UNUSED_PAD src0_sel:DWORD src1_sel:WORD_1
	;; [unrolled: 1-line block ×3, first 2 shown]
	v_fma_f16 v22, v22, v12, -v63
	v_fmac_f16_e32 v67, v53, v12
	v_mul_f16_sdwa v70, v56, v14 dst_sel:DWORD dst_unused:UNUSED_PAD src0_sel:DWORD src1_sel:WORD_1
	v_mul_f16_sdwa v72, v54, v15 dst_sel:DWORD dst_unused:UNUSED_PAD src0_sel:DWORD src1_sel:WORD_1
	;; [unrolled: 1-line block ×12, first 2 shown]
	v_fma_f16 v29, v29, v13, -v68
	v_fmac_f16_e32 v69, v55, v13
	v_fmac_f16_e32 v71, v56, v14
	v_fma_f16 v56, v23, v17, -v82
	v_fma_f16 v68, v24, v18, -v84
	v_fmac_f16_e32 v85, v62, v18
	v_add_f16_e32 v23, v21, v22
	v_add_f16_sdwa v24, v21, v67 dst_sel:DWORD dst_unused:UNUSED_PAD src0_sel:WORD_1 src1_sel:DWORD
	v_fma_f16 v30, v30, v14, -v70
	v_fma_f16 v19, v19, v15, -v72
	v_fmac_f16_e32 v73, v54, v15
	v_fma_f16 v27, v27, v8, -v74
	v_fmac_f16_e32 v75, v57, v8
	;; [unrolled: 2-line block ×5, first 2 shown]
	v_fmac_f16_e32 v83, v61, v17
	v_add_f16_e32 v53, v22, v68
	v_sub_f16_e32 v22, v22, v68
	v_sub_f16_e32 v55, v67, v85
	v_add_f16_e32 v23, v23, v29
	v_add_f16_e32 v24, v24, v69
	;; [unrolled: 1-line block ×5, first 2 shown]
	v_sub_f16_e32 v59, v29, v56
	v_sub_f16_e32 v60, v69, v83
	;; [unrolled: 1-line block ×8, first 2 shown]
	v_mul_f16_e32 v29, 0xb853, v55
	v_mul_f16_e32 v69, 0xb853, v22
	;; [unrolled: 1-line block ×10, first 2 shown]
	v_add_f16_e32 v23, v23, v30
	v_add_f16_e32 v24, v24, v71
	;; [unrolled: 1-line block ×8, first 2 shown]
	v_mul_f16_e32 v92, 0xbb47, v60
	v_mul_f16_e32 v93, 0xbb47, v59
	;; [unrolled: 1-line block ×40, first 2 shown]
	v_fma_f16 v30, v53, 0x3abb, -v29
	v_fmamk_f16 v71, v54, 0x3abb, v69
	v_fmac_f16_e32 v29, 0x3abb, v53
	v_fma_f16 v69, v54, 0x3abb, -v69
	v_fma_f16 v124, v53, 0x36a6, -v86
	v_fmamk_f16 v125, v54, 0x36a6, v87
	v_fmac_f16_e32 v86, 0x36a6, v53
	v_fma_f16 v87, v54, 0x36a6, -v87
	;; [unrolled: 4-line block ×5, first 2 shown]
	v_add_f16_e32 v19, v23, v19
	v_add_f16_e32 v23, v24, v73
	v_fma_f16 v53, v57, 0x36a6, -v92
	v_fmamk_f16 v54, v58, 0x36a6, v93
	v_fmac_f16_e32 v92, 0x36a6, v57
	v_fma_f16 v93, v58, 0x36a6, -v93
	v_fma_f16 v132, v57, 0xb93d, -v94
	v_fmamk_f16 v133, v58, 0xb93d, v95
	v_fmac_f16_e32 v94, 0xb93d, v57
	v_fma_f16 v95, v58, 0xb93d, -v95
	;; [unrolled: 4-line block ×10, first 2 shown]
	v_fma_f16 v62, v70, 0xb93d, -v108
	v_fmac_f16_e32 v108, 0xb93d, v70
	v_fma_f16 v63, v70, 0xb08e, -v110
	v_fmac_f16_e32 v110, 0xb08e, v70
	;; [unrolled: 2-line block ×5, first 2 shown]
	v_fmamk_f16 v70, v72, 0xb93d, v109
	v_fma_f16 v109, v72, 0xb93d, -v109
	v_fmamk_f16 v151, v72, 0xb08e, v111
	v_fma_f16 v111, v72, 0xb08e, -v111
	;; [unrolled: 2-line block ×5, first 2 shown]
	v_fma_f16 v74, v80, 0xbbad, -v116
	v_fmac_f16_e32 v116, 0xbbad, v80
	v_fma_f16 v155, v80, 0x3abb, -v117
	v_fmac_f16_e32 v117, 0x3abb, v80
	;; [unrolled: 2-line block ×5, first 2 shown]
	v_fmamk_f16 v80, v84, 0xbbad, v120
	v_fma_f16 v120, v84, 0xbbad, -v120
	v_fmamk_f16 v159, v84, 0x3abb, v121
	v_fma_f16 v121, v84, 0x3abb, -v121
	;; [unrolled: 2-line block ×5, first 2 shown]
	v_add_f16_e32 v30, v21, v30
	v_add_f16_sdwa v71, v21, v71 dst_sel:DWORD dst_unused:UNUSED_PAD src0_sel:WORD_1 src1_sel:DWORD
	v_add_f16_e32 v29, v21, v29
	v_add_f16_sdwa v69, v21, v69 dst_sel:DWORD dst_unused:UNUSED_PAD src0_sel:WORD_1 src1_sel:DWORD
	;; [unrolled: 2-line block ×10, first 2 shown]
	v_add_f16_e32 v19, v19, v27
	v_add_f16_e32 v22, v23, v75
	;; [unrolled: 1-line block ×92, first 2 shown]
	v_pack_b32_f16 v69, v25, v62
	v_pack_b32_f16 v70, v26, v61
	;; [unrolled: 1-line block ×11, first 2 shown]
	ds_write2_b32 v64, v69, v70 offset0:56 offset1:212
	ds_write_b32 v31, v71 offset:2496
	ds_write_b32 v31, v75 offset:6240
	ds_write2_b32 v31, v76, v67 offset1:156
	ds_write_b32 v31, v72 offset:3120
	ds_write2_b32 v65, v68, v73 offset0:40 offset1:196
	ds_write2_b32 v66, v74, v77 offset0:96 offset1:252
	s_waitcnt lgkmcnt(0)
	s_barrier
	buffer_gl0_inv
	s_and_saveexec_b32 s3, vcc_lo
	s_cbranch_execz .LBB0_17
; %bb.16:
	v_add_co_u32 v64, s2, s14, v31
	v_add_co_ci_u32_e64 v73, null, s15, 0, s2
	v_add_nc_u32_e32 v90, 0x200, v31
	v_add_co_u32 v67, s2, 0x1800, v64
	v_add_co_ci_u32_e64 v68, s2, 0, v73, s2
	v_add_nc_u32_e32 v91, 0x600, v31
	v_add_nc_u32_e32 v92, 0xa00, v31
	;; [unrolled: 1-line block ×3, first 2 shown]
	global_load_dword v74, v[67:68], off offset:720
	v_add_co_u32 v67, s2, 0x1ad0, v64
	v_add_co_ci_u32_e64 v68, s2, 0, v73, s2
	v_add_co_u32 v69, s2, 0x2000, v64
	v_add_co_ci_u32_e64 v70, s2, 0, v73, s2
	;; [unrolled: 2-line block ×3, first 2 shown]
	s_clause 0x7
	global_load_dword v79, v[67:68], off offset:528
	global_load_dword v80, v[67:68], off offset:1056
	;; [unrolled: 1-line block ×8, first 2 shown]
	v_add_co_u32 v67, s2, 0x3000, v64
	v_add_co_ci_u32_e64 v68, s2, 0, v73, s2
	s_clause 0x3
	global_load_dword v64, v[71:72], off offset:1376
	global_load_dword v87, v[71:72], off offset:1904
	global_load_dword v88, v[67:68], off offset:384
	global_load_dword v89, v[67:68], off offset:912
	ds_read_b32 v67, v31
	s_waitcnt lgkmcnt(0)
	v_lshrrev_b32_e32 v68, 16, v67
	s_waitcnt vmcnt(12)
	v_mul_f16_sdwa v69, v68, v74 dst_sel:DWORD dst_unused:UNUSED_PAD src0_sel:DWORD src1_sel:WORD_1
	v_mul_f16_sdwa v70, v67, v74 dst_sel:DWORD dst_unused:UNUSED_PAD src0_sel:DWORD src1_sel:WORD_1
	v_fma_f16 v67, v67, v74, -v69
	v_fmac_f16_e32 v70, v68, v74
	v_pack_b32_f16 v67, v67, v70
	ds_write_b32 v31, v67
	ds_read2_b32 v[67:68], v90 offset0:4 offset1:136
	ds_read2_b32 v[69:70], v91 offset0:12 offset1:144
	;; [unrolled: 1-line block ×6, first 2 shown]
	s_waitcnt lgkmcnt(4)
	v_lshrrev_b32_e32 v98, 16, v69
	v_lshrrev_b32_e32 v94, 16, v67
	s_waitcnt vmcnt(11)
	v_mul_f16_sdwa v95, v67, v79 dst_sel:DWORD dst_unused:UNUSED_PAD src0_sel:DWORD src1_sel:WORD_1
	v_lshrrev_b32_e32 v96, 16, v68
	s_waitcnt vmcnt(10)
	v_mul_f16_sdwa v97, v68, v80 dst_sel:DWORD dst_unused:UNUSED_PAD src0_sel:DWORD src1_sel:WORD_1
	s_waitcnt vmcnt(5)
	v_mul_f16_sdwa v99, v69, v85 dst_sel:DWORD dst_unused:UNUSED_PAD src0_sel:DWORD src1_sel:WORD_1
	v_lshrrev_b32_e32 v100, 16, v70
	v_mul_f16_sdwa v101, v70, v81 dst_sel:DWORD dst_unused:UNUSED_PAD src0_sel:DWORD src1_sel:WORD_1
	s_waitcnt lgkmcnt(3)
	v_lshrrev_b32_e32 v102, 16, v71
	v_mul_f16_sdwa v103, v71, v82 dst_sel:DWORD dst_unused:UNUSED_PAD src0_sel:DWORD src1_sel:WORD_1
	v_lshrrev_b32_e32 v104, 16, v72
	v_mul_f16_sdwa v105, v72, v83 dst_sel:DWORD dst_unused:UNUSED_PAD src0_sel:DWORD src1_sel:WORD_1
	s_waitcnt lgkmcnt(2)
	v_lshrrev_b32_e32 v106, 16, v73
	v_mul_f16_sdwa v107, v73, v84 dst_sel:DWORD dst_unused:UNUSED_PAD src0_sel:DWORD src1_sel:WORD_1
	v_lshrrev_b32_e32 v108, 16, v74
	s_waitcnt vmcnt(4)
	v_mul_f16_sdwa v109, v74, v86 dst_sel:DWORD dst_unused:UNUSED_PAD src0_sel:DWORD src1_sel:WORD_1
	s_waitcnt lgkmcnt(1)
	v_lshrrev_b32_e32 v110, 16, v75
	s_waitcnt vmcnt(3)
	v_mul_f16_sdwa v111, v75, v64 dst_sel:DWORD dst_unused:UNUSED_PAD src0_sel:DWORD src1_sel:WORD_1
	v_lshrrev_b32_e32 v112, 16, v76
	s_waitcnt vmcnt(2)
	v_mul_f16_sdwa v113, v76, v87 dst_sel:DWORD dst_unused:UNUSED_PAD src0_sel:DWORD src1_sel:WORD_1
	s_waitcnt lgkmcnt(0)
	v_lshrrev_b32_e32 v114, 16, v77
	s_waitcnt vmcnt(1)
	v_mul_f16_sdwa v115, v77, v88 dst_sel:DWORD dst_unused:UNUSED_PAD src0_sel:DWORD src1_sel:WORD_1
	v_lshrrev_b32_e32 v116, 16, v78
	v_mul_f16_sdwa v118, v94, v79 dst_sel:DWORD dst_unused:UNUSED_PAD src0_sel:DWORD src1_sel:WORD_1
	v_fmac_f16_e32 v95, v94, v79
	v_mul_f16_sdwa v94, v96, v80 dst_sel:DWORD dst_unused:UNUSED_PAD src0_sel:DWORD src1_sel:WORD_1
	v_fmac_f16_e32 v97, v96, v80
	;; [unrolled: 2-line block ×9, first 2 shown]
	v_mul_f16_sdwa v110, v112, v87 dst_sel:DWORD dst_unused:UNUSED_PAD src0_sel:DWORD src1_sel:WORD_1
	s_waitcnt vmcnt(0)
	v_mul_f16_sdwa v117, v78, v89 dst_sel:DWORD dst_unused:UNUSED_PAD src0_sel:DWORD src1_sel:WORD_1
	v_fmac_f16_e32 v113, v112, v87
	v_mul_f16_sdwa v112, v114, v88 dst_sel:DWORD dst_unused:UNUSED_PAD src0_sel:DWORD src1_sel:WORD_1
	v_fmac_f16_e32 v115, v114, v88
	v_mul_f16_sdwa v114, v116, v89 dst_sel:DWORD dst_unused:UNUSED_PAD src0_sel:DWORD src1_sel:WORD_1
	v_fma_f16 v67, v67, v79, -v118
	v_fma_f16 v68, v68, v80, -v94
	;; [unrolled: 1-line block ×10, first 2 shown]
	v_fmac_f16_e32 v117, v116, v89
	v_fma_f16 v76, v77, v88, -v112
	v_fma_f16 v77, v78, v89, -v114
	v_pack_b32_f16 v67, v67, v95
	v_pack_b32_f16 v68, v68, v97
	;; [unrolled: 1-line block ×12, first 2 shown]
	ds_write2_b32 v90, v67, v68 offset0:4 offset1:136
	ds_write2_b32 v91, v69, v70 offset0:12 offset1:144
	;; [unrolled: 1-line block ×6, first 2 shown]
.LBB0_17:
	s_or_b32 exec_lo, exec_lo, s3
	s_waitcnt lgkmcnt(0)
	s_barrier
	buffer_gl0_inv
	s_and_saveexec_b32 s2, vcc_lo
	s_cbranch_execz .LBB0_19
; %bb.18:
	v_add_nc_u32_e32 v19, 0x400, v31
	v_add_nc_u32_e32 v20, 0x800, v31
	;; [unrolled: 1-line block ×3, first 2 shown]
	ds_read2_b32 v[21:22], v31 offset1:132
	ds_read2_b32 v[25:26], v19 offset0:8 offset1:140
	v_add_nc_u32_e32 v19, 0x1000, v31
	ds_read2_b32 v[27:28], v20 offset0:16 offset1:148
	v_add_nc_u32_e32 v20, 0x1400, v31
	ds_read2_b32 v[29:30], v23 offset0:24 offset1:156
	ds_read2_b32 v[23:24], v19 offset0:32 offset1:164
	;; [unrolled: 1-line block ×3, first 2 shown]
	ds_read_b32 v34, v31 offset:6336
	s_waitcnt lgkmcnt(6)
	v_lshrrev_b32_e32 v56, 16, v21
	v_lshrrev_b32_e32 v63, 16, v22
	s_waitcnt lgkmcnt(5)
	v_lshrrev_b32_e32 v62, 16, v25
	v_lshrrev_b32_e32 v61, 16, v26
	;; [unrolled: 3-line block ×6, first 2 shown]
	s_waitcnt lgkmcnt(0)
	v_lshrrev_b32_e32 v35, 16, v34
.LBB0_19:
	s_or_b32 exec_lo, exec_lo, s2
	v_sub_f16_e32 v79, v63, v35
	v_add_f16_e32 v84, v35, v63
	v_add_f16_e32 v68, v34, v22
	v_sub_f16_e32 v78, v62, v52
	v_sub_f16_e32 v70, v22, v34
	v_mul_f16_e32 v87, 0xba95, v79
	v_mul_f16_e32 v91, 0x388b, v84
	v_add_f16_e32 v69, v20, v25
	v_add_f16_e32 v85, v52, v62
	v_mul_f16_e32 v99, 0xbbf1, v79
	v_fma_f16 v64, v68, 0x388b, -v87
	v_mul_f16_e32 v102, 0x2fb7, v84
	v_mul_f16_e32 v88, 0xbb7b, v78
	v_fmamk_f16 v65, v70, 0xba95, v91
	v_fma_f16 v66, v68, 0x2fb7, -v99
	v_add_f16_e32 v64, v21, v64
	v_fmamk_f16 v67, v70, 0xbbf1, v102
	v_fma_f16 v72, v69, 0xb5ac, -v88
	v_sub_f16_e32 v71, v25, v20
	v_mul_f16_e32 v96, 0xb5ac, v85
	v_sub_f16_e32 v80, v61, v53
	v_mul_f16_e32 v103, 0xb3a8, v78
	v_mul_f16_e32 v107, 0xbbc4, v85
	v_add_f16_e32 v89, v53, v61
	v_add_f16_e32 v65, v56, v65
	;; [unrolled: 1-line block ×5, first 2 shown]
	v_fmamk_f16 v74, v71, 0xbb7b, v96
	v_add_f16_e32 v72, v19, v26
	v_mul_f16_e32 v94, 0xb3a8, v80
	v_fma_f16 v75, v69, 0xbbc4, -v103
	v_fmamk_f16 v76, v71, 0xb3a8, v107
	v_sub_f16_e32 v73, v26, v19
	v_mul_f16_e32 v98, 0xbbc4, v89
	v_add_f16_e32 v95, v54, v60
	v_fma_f16 v77, v72, 0xbbc4, -v94
	v_add_f16_e32 v65, v74, v65
	v_add_f16_e32 v66, v75, v66
	;; [unrolled: 1-line block ×3, first 2 shown]
	v_fmamk_f16 v76, v73, 0xb3a8, v98
	v_sub_f16_e32 v83, v60, v54
	v_mul_f16_e32 v108, 0x3b7b, v80
	v_mul_f16_e32 v110, 0xb5ac, v89
	v_sub_f16_e32 v75, v27, v24
	v_mul_f16_e32 v101, 0xb9fd, v95
	v_add_f16_e32 v64, v77, v64
	v_add_f16_e32 v74, v24, v27
	v_mul_f16_e32 v97, 0x394e, v83
	v_fma_f16 v77, v72, 0xb5ac, -v108
	v_fmamk_f16 v81, v73, 0x3b7b, v110
	v_add_f16_e32 v65, v76, v65
	v_fmamk_f16 v76, v75, 0x394e, v101
	v_mul_f16_e32 v109, 0x3770, v83
	v_sub_f16_e32 v86, v59, v55
	v_fma_f16 v82, v74, 0xb9fd, -v97
	v_add_f16_e32 v66, v77, v66
	v_add_f16_e32 v67, v81, v67
	;; [unrolled: 1-line block ×4, first 2 shown]
	v_fma_f16 v81, v74, 0x3b15, -v109
	v_add_f16_e32 v76, v23, v28
	v_mul_f16_e32 v100, 0x3bf1, v86
	v_mul_f16_e32 v111, 0xba95, v86
	v_add_f16_e32 v64, v82, v64
	v_mul_f16_e32 v112, 0x3b15, v95
	v_sub_f16_e32 v77, v28, v23
	v_mul_f16_e32 v104, 0x2fb7, v93
	v_fma_f16 v90, v76, 0x2fb7, -v100
	v_add_f16_e32 v66, v81, v66
	v_fma_f16 v92, v76, 0x388b, -v111
	v_fmamk_f16 v82, v75, 0x3770, v112
	v_fmamk_f16 v81, v77, 0x3bf1, v104
	v_add_f16_e32 v64, v90, v64
	v_mul_f16_e32 v114, 0x388b, v93
	v_add_f16_e32 v116, v92, v66
	v_sub_f16_e32 v90, v58, v57
	v_add_f16_e32 v92, v57, v58
	v_add_f16_e32 v67, v82, v67
	v_add_f16_e32 v65, v81, v65
	v_fmamk_f16 v66, v77, 0xba95, v114
	v_add_f16_e32 v81, v30, v29
	v_sub_f16_e32 v82, v29, v30
	v_mul_f16_e32 v105, 0x3770, v90
	v_mul_f16_e32 v106, 0x3b15, v92
	;; [unrolled: 1-line block ×4, first 2 shown]
	v_add_f16_e32 v117, v66, v67
	v_fma_f16 v66, v81, 0x3b15, -v105
	v_fmamk_f16 v67, v82, 0x3770, v106
	v_fma_f16 v118, v81, 0xb9fd, -v113
	v_fmamk_f16 v119, v82, 0xb94e, v115
	v_add_f16_e32 v66, v66, v64
	v_add_f16_e32 v67, v67, v65
	;; [unrolled: 1-line block ×4, first 2 shown]
	s_barrier
	buffer_gl0_inv
	s_and_saveexec_b32 s2, vcc_lo
	s_cbranch_execz .LBB0_21
; %bb.20:
	v_mul_f16_e32 v130, 0xbb7b, v70
	v_mul_f16_e32 v136, 0x394e, v71
	;; [unrolled: 1-line block ×5, first 2 shown]
	v_fmamk_f16 v135, v84, 0xb5ac, v130
	v_fmamk_f16 v140, v85, 0xb9fd, v136
	v_mul_f16_e32 v148, 0x394e, v78
	v_fma_f16 v147, v68, 0xb5ac, -v144
	v_mul_f16_e32 v149, 0x33a8, v77
	v_add_f16_e32 v135, v56, v135
	v_mul_f16_e32 v151, 0x3770, v80
	v_fma_f16 v150, v69, 0xb9fd, -v148
	v_add_f16_e32 v147, v21, v147
	v_mul_f16_e32 v152, 0x3a95, v82
	v_add_f16_e32 v135, v140, v135
	v_fmamk_f16 v140, v89, 0x3b15, v141
	v_mul_f16_e32 v153, 0xbbf1, v83
	v_add_f16_e32 v147, v150, v147
	v_fma_f16 v150, v72, 0x3b15, -v151
	v_mul_f16_e32 v154, 0xb94e, v70
	v_add_f16_e32 v135, v140, v135
	v_fmamk_f16 v140, v95, 0x2fb7, v145
	v_mul_f16_e32 v116, 0x388b, v68
	v_add_f16_e32 v147, v150, v147
	v_fma_f16 v150, v74, 0x2fb7, -v153
	v_mul_f16_e32 v155, 0x33a8, v86
	v_add_f16_e32 v135, v140, v135
	v_fmamk_f16 v140, v93, 0xbbc4, v149
	v_mul_f16_e32 v156, 0x3bf1, v71
	v_mul_f16_e32 v120, 0xb5ac, v69
	v_add_f16_e32 v87, v116, v87
	v_add_f16_e32 v147, v150, v147
	;; [unrolled: 1-line block ×3, first 2 shown]
	v_fmamk_f16 v140, v92, 0x388b, v152
	v_fma_f16 v150, v76, 0xbbc4, -v155
	v_mul_f16_e32 v157, 0x3a95, v90
	v_fmamk_f16 v158, v85, 0x2fb7, v156
	v_mul_f16_e32 v159, 0xba95, v73
	v_add_f16_e32 v135, v140, v135
	v_fmamk_f16 v140, v84, 0xb9fd, v154
	v_mul_f16_e32 v124, 0xbbc4, v72
	v_add_f16_e32 v87, v21, v87
	v_add_f16_e32 v88, v120, v88
	;; [unrolled: 1-line block ×4, first 2 shown]
	v_fma_f16 v150, v81, 0x388b, -v157
	v_mul_f16_e32 v160, 0xb94e, v79
	v_mul_f16_e32 v161, 0x33a8, v75
	;; [unrolled: 1-line block ×3, first 2 shown]
	v_add_f16_e32 v140, v158, v140
	v_fmamk_f16 v158, v89, 0x388b, v159
	v_add_f16_e32 v87, v88, v87
	v_add_f16_e32 v88, v124, v94
	;; [unrolled: 1-line block ×3, first 2 shown]
	v_fma_f16 v150, v68, 0xb9fd, -v160
	v_mul_f16_e32 v162, 0x3bf1, v78
	v_add_f16_e32 v140, v158, v140
	v_fmamk_f16 v158, v95, 0xbbc4, v161
	v_mul_f16_e32 v163, 0x3770, v77
	v_mul_f16_e32 v133, 0x2fb7, v76
	v_add_f16_e32 v87, v88, v87
	v_add_f16_e32 v88, v128, v97
	;; [unrolled: 1-line block ×3, first 2 shown]
	v_fma_f16 v164, v69, 0x2fb7, -v162
	v_mul_f16_e32 v165, 0xba95, v80
	v_add_f16_e32 v140, v158, v140
	v_fmamk_f16 v158, v93, 0x3b15, v163
	v_mul_f16_e32 v166, 0xbb7b, v82
	v_mul_f16_e32 v139, 0x3b15, v81
	v_add_f16_e32 v87, v88, v87
	v_add_f16_e32 v88, v133, v100
	;; [unrolled: 1-line block ×4, first 2 shown]
	v_fma_f16 v164, v72, 0x388b, -v165
	v_mul_f16_e32 v167, 0x33a8, v83
	v_add_f16_e32 v140, v158, v140
	v_fmamk_f16 v158, v92, 0xb5ac, v166
	v_mul_f16_e32 v168, 0xb3a8, v70
	v_mul_f16_e32 v174, 0xb3a8, v79
	v_add_f16_e32 v87, v88, v87
	v_add_f16_e32 v88, v139, v105
	v_mul_f16_e32 v79, 0xb770, v79
	v_mul_f16_e32 v117, 0xba95, v70
	v_add_f16_e32 v22, v25, v22
	v_add_f16_e32 v25, v63, v56
	;; [unrolled: 1-line block ×3, first 2 shown]
	v_fma_f16 v164, v74, 0xbbc4, -v167
	v_mul_f16_e32 v169, 0x3770, v86
	v_add_f16_e32 v140, v158, v140
	v_fmamk_f16 v158, v84, 0xbbc4, v168
	v_mul_f16_e32 v170, 0x3770, v71
	v_mul_f16_e32 v176, 0x3770, v78
	v_add_f16_e32 v87, v88, v87
	v_fmamk_f16 v88, v68, 0x3b15, v79
	v_mul_f16_e32 v78, 0xba95, v78
	v_mul_f16_e32 v121, 0xbb7b, v71
	v_sub_f16_e32 v91, v91, v117
	v_add_f16_e32 v22, v26, v22
	v_add_f16_e32 v25, v62, v25
	v_add_f16_e32 v150, v164, v150
	v_fma_f16 v164, v76, 0x3b15, -v169
	v_mul_f16_e32 v171, 0xbb7b, v90
	v_add_f16_e32 v158, v56, v158
	v_fmamk_f16 v172, v85, 0x3b15, v170
	v_mul_f16_e32 v173, 0xb94e, v73
	v_mul_f16_e32 v179, 0xb94e, v80
	v_add_f16_e32 v88, v21, v88
	v_fmamk_f16 v63, v69, 0x388b, v78
	v_mul_f16_e32 v80, 0xbbf1, v80
	v_mul_f16_e32 v125, 0xb3a8, v73
	v_add_f16_e32 v91, v56, v91
	v_sub_f16_e32 v96, v96, v121
	v_add_f16_e32 v22, v27, v22
	v_add_f16_e32 v25, v61, v25
	;; [unrolled: 1-line block ×3, first 2 shown]
	v_fma_f16 v164, v81, 0xb5ac, -v171
	v_add_f16_e32 v158, v172, v158
	v_fmamk_f16 v172, v89, 0xb9fd, v173
	v_mul_f16_e32 v175, 0x3a95, v75
	v_add_f16_e32 v26, v63, v88
	v_fmamk_f16 v62, v72, 0x2fb7, v80
	v_mul_f16_e32 v63, 0xbb7b, v83
	v_mul_f16_e32 v129, 0x394e, v75
	v_add_f16_e32 v91, v96, v91
	v_sub_f16_e32 v96, v98, v125
	v_add_f16_e32 v22, v28, v22
	v_add_f16_e32 v25, v60, v25
	;; [unrolled: 1-line block ×3, first 2 shown]
	v_fma_f16 v164, v68, 0xbbc4, -v174
	v_add_f16_e32 v158, v172, v158
	v_fmamk_f16 v172, v95, 0x388b, v175
	v_mul_f16_e32 v177, 0xbb7b, v77
	v_add_f16_e32 v26, v62, v26
	v_fmamk_f16 v61, v74, 0xb5ac, v63
	v_mul_f16_e32 v28, 0xb94e, v86
	v_mul_f16_e32 v134, 0x3bf1, v77
	v_fma_f16 v168, v84, 0xbbc4, -v168
	v_fma_f16 v154, v84, 0xb9fd, -v154
	;; [unrolled: 1-line block ×3, first 2 shown]
	v_add_f16_e32 v91, v96, v91
	v_sub_f16_e32 v96, v101, v129
	v_mul_f16_e32 v84, 0x3b15, v84
	v_add_f16_e32 v22, v29, v22
	v_add_f16_e32 v25, v59, v25
	v_mul_f16_e32 v118, 0x2fb7, v68
	v_mul_f16_e32 v119, 0xbbf1, v70
	v_add_f16_e32 v164, v21, v164
	v_fma_f16 v178, v69, 0x3b15, -v176
	v_add_f16_e32 v158, v172, v158
	v_fmamk_f16 v172, v93, 0xb5ac, v177
	v_mul_f16_e32 v180, 0x3bf1, v82
	v_add_f16_e32 v26, v61, v26
	v_fmamk_f16 v29, v76, 0xb9fd, v28
	v_mul_f16_e32 v59, 0xb3a8, v90
	v_add_f16_e32 v168, v56, v168
	v_fma_f16 v170, v85, 0x3b15, -v170
	v_add_f16_e32 v154, v56, v154
	v_fma_f16 v156, v85, 0x2fb7, -v156
	;; [unrolled: 2-line block ×3, first 2 shown]
	v_add_f16_e32 v91, v96, v91
	v_sub_f16_e32 v94, v104, v134
	v_fmamk_f16 v96, v70, 0x3770, v84
	v_mul_f16_e32 v85, 0x388b, v85
	v_add_f16_e32 v22, v30, v22
	v_add_f16_e32 v25, v58, v25
	v_mul_f16_e32 v122, 0xbbc4, v69
	v_mul_f16_e32 v123, 0xb3a8, v71
	v_add_f16_e32 v164, v178, v164
	v_fma_f16 v178, v72, 0xb9fd, -v179
	v_mul_f16_e32 v181, 0x3a95, v83
	v_add_f16_e32 v158, v172, v158
	v_fmamk_f16 v172, v92, 0x2fb7, v180
	v_sub_f16_e32 v102, v102, v119
	v_add_f16_e32 v99, v118, v99
	v_add_f16_e32 v26, v29, v26
	v_fmamk_f16 v29, v81, 0xbbc4, v59
	v_add_f16_e32 v168, v170, v168
	v_fma_f16 v170, v89, 0xb9fd, -v173
	v_fmac_f16_e32 v160, 0xb9fd, v68
	v_add_f16_e32 v154, v156, v154
	v_fma_f16 v156, v89, 0x388b, -v159
	v_add_f16_e32 v130, v136, v130
	v_fma_f16 v136, v89, 0x3b15, -v141
	v_fmac_f16_e32 v144, 0xb5ac, v68
	v_add_f16_e32 v91, v94, v91
	v_add_f16_e32 v94, v56, v96
	v_fmamk_f16 v96, v71, 0x3a95, v85
	v_mul_f16_e32 v89, 0x2fb7, v89
	v_add_f16_e32 v22, v23, v22
	v_add_f16_e32 v23, v57, v25
	v_mul_f16_e32 v126, 0xb5ac, v72
	v_mul_f16_e32 v127, 0x3b7b, v73
	v_add_f16_e32 v164, v178, v164
	v_fma_f16 v178, v74, 0x388b, -v181
	v_add_f16_e32 v158, v172, v158
	v_mul_f16_e32 v172, 0xbb7b, v86
	v_fmac_f16_e32 v174, 0xbbc4, v68
	v_add_f16_e32 v102, v56, v102
	v_sub_f16_e32 v107, v107, v123
	v_add_f16_e32 v99, v21, v99
	v_add_f16_e32 v103, v122, v103
	v_fmac_f16_e32 v84, 0xb770, v70
	v_add_f16_e32 v25, v29, v26
	v_fma_f16 v26, v68, 0x3b15, -v79
	v_add_f16_e32 v168, v170, v168
	v_fma_f16 v170, v95, 0x388b, -v175
	v_add_f16_e32 v160, v21, v160
	v_fmac_f16_e32 v162, 0x2fb7, v69
	v_add_f16_e32 v154, v156, v154
	v_fma_f16 v156, v95, 0xbbc4, -v161
	v_add_f16_e32 v130, v136, v130
	v_fma_f16 v136, v95, 0x2fb7, -v145
	v_add_f16_e32 v144, v21, v144
	v_fmac_f16_e32 v148, 0xb9fd, v69
	v_add_f16_e32 v94, v96, v94
	v_fmamk_f16 v96, v73, 0x3bf1, v89
	v_mul_f16_e32 v95, 0xb5ac, v95
	v_add_f16_e32 v22, v24, v22
	v_add_f16_e32 v23, v55, v23
	v_mul_f16_e32 v131, 0x3b15, v74
	v_mul_f16_e32 v132, 0x3770, v75
	v_add_f16_e32 v164, v178, v164
	v_fma_f16 v173, v76, 0xb5ac, -v172
	v_mul_f16_e32 v178, 0x3bf1, v90
	v_add_f16_e32 v174, v21, v174
	v_fmac_f16_e32 v176, 0x3b15, v69
	v_add_f16_e32 v102, v107, v102
	v_sub_f16_e32 v107, v110, v127
	v_add_f16_e32 v99, v103, v99
	v_add_f16_e32 v103, v126, v108
	;; [unrolled: 1-line block ×3, first 2 shown]
	v_fmac_f16_e32 v85, 0xba95, v71
	v_add_f16_e32 v21, v21, v26
	v_fma_f16 v26, v69, 0x388b, -v78
	v_add_f16_e32 v168, v170, v168
	v_fma_f16 v170, v93, 0xb5ac, -v177
	v_add_f16_e32 v160, v162, v160
	v_fmac_f16_e32 v165, 0x388b, v72
	v_add_f16_e32 v154, v156, v154
	v_fma_f16 v156, v93, 0x3b15, -v163
	v_add_f16_e32 v130, v136, v130
	v_fma_f16 v136, v93, 0xbbc4, -v149
	v_add_f16_e32 v119, v148, v144
	v_fmac_f16_e32 v151, 0x3b15, v72
	v_add_f16_e32 v94, v96, v94
	v_fmamk_f16 v96, v75, 0x3b7b, v95
	v_mul_f16_e32 v93, 0xb9fd, v93
	v_add_f16_e32 v19, v19, v22
	v_add_f16_e32 v22, v54, v23
	v_mul_f16_e32 v137, 0x388b, v76
	v_mul_f16_e32 v138, 0xba95, v77
	v_add_f16_e32 v164, v173, v164
	v_fma_f16 v173, v81, 0x2fb7, -v178
	v_add_f16_e32 v174, v176, v174
	v_fmac_f16_e32 v179, 0xb9fd, v72
	v_add_f16_e32 v102, v107, v102
	v_sub_f16_e32 v107, v112, v132
	v_add_f16_e32 v99, v103, v99
	v_add_f16_e32 v103, v131, v109
	;; [unrolled: 1-line block ×3, first 2 shown]
	v_fmac_f16_e32 v89, 0xbbf1, v73
	v_add_f16_e32 v21, v26, v21
	v_fma_f16 v24, v72, 0x2fb7, -v80
	v_add_f16_e32 v160, v165, v160
	v_fmac_f16_e32 v167, 0xbbc4, v74
	v_add_f16_e32 v119, v151, v119
	v_fmac_f16_e32 v153, 0x2fb7, v74
	v_add_f16_e32 v94, v96, v94
	v_fmamk_f16 v96, v77, 0x394e, v93
	v_mul_f16_e32 v60, 0xbbc4, v92
	v_add_f16_e32 v19, v20, v19
	v_add_f16_e32 v20, v53, v22
	v_mul_f16_e32 v142, 0x3770, v82
	v_mul_f16_e32 v143, 0xb9fd, v81
	v_mul_f16_e32 v146, 0xb94e, v82
	v_add_f16_e32 v164, v173, v164
	v_add_f16_e32 v173, v179, v174
	v_fmac_f16_e32 v181, 0x388b, v74
	v_add_f16_e32 v102, v107, v102
	v_sub_f16_e32 v107, v114, v138
	v_add_f16_e32 v99, v103, v99
	v_add_f16_e32 v103, v137, v111
	;; [unrolled: 1-line block ×3, first 2 shown]
	v_fmac_f16_e32 v95, 0xbb7b, v75
	v_add_f16_e32 v21, v24, v21
	v_fma_f16 v23, v74, 0xb5ac, -v63
	v_add_f16_e32 v141, v167, v160
	v_fmac_f16_e32 v169, 0x3b15, v76
	v_add_f16_e32 v110, v153, v119
	v_fmac_f16_e32 v155, 0xbbc4, v76
	v_add_f16_e32 v27, v96, v94
	v_fmamk_f16 v61, v82, 0x33a8, v60
	v_add_f16_e32 v20, v52, v20
	v_add_f16_e32 v173, v181, v173
	v_fmac_f16_e32 v172, 0xb5ac, v76
	v_add_f16_e32 v102, v107, v102
	v_sub_f16_e32 v107, v115, v146
	v_add_f16_e32 v98, v103, v99
	v_add_f16_e32 v99, v143, v113
	v_sub_f16_e32 v97, v106, v142
	v_add_f16_e32 v22, v95, v22
	v_fmac_f16_e32 v93, 0xb94e, v77
	v_add_f16_e32 v21, v23, v21
	v_fma_f16 v23, v76, 0xb9fd, -v28
	v_add_f16_e32 v154, v156, v154
	v_fma_f16 v156, v92, 0xb5ac, -v166
	v_add_f16_e32 v141, v169, v141
	v_fmac_f16_e32 v171, 0xb5ac, v81
	v_add_f16_e32 v130, v136, v130
	v_fma_f16 v123, v92, 0x388b, -v152
	v_add_f16_e32 v110, v155, v110
	v_fmac_f16_e32 v157, 0x388b, v81
	v_add_f16_e32 v27, v61, v27
	v_add_f16_e32 v19, v34, v19
	;; [unrolled: 1-line block ×3, first 2 shown]
	v_mov_b32_e32 v24, 2
	v_add_f16_e32 v168, v170, v168
	v_fma_f16 v170, v92, 0x2fb7, -v180
	v_add_f16_e32 v159, v172, v173
	v_fmac_f16_e32 v178, 0x2fb7, v81
	v_add_f16_e32 v102, v107, v102
	v_add_f16_e32 v98, v99, v98
	;; [unrolled: 1-line block ×4, first 2 shown]
	v_fmac_f16_e32 v60, 0xb3a8, v82
	v_add_f16_e32 v21, v23, v21
	v_fma_f16 v23, v81, 0xbbc4, -v59
	v_add_f16_e32 v154, v156, v154
	v_add_f16_e32 v141, v171, v141
	;; [unrolled: 1-line block ×3, first 2 shown]
	v_lshlrev_b32_sdwa v24, v24, v33 dst_sel:DWORD dst_unused:UNUSED_PAD src0_sel:DWORD src1_sel:WORD_0
	v_pack_b32_f16 v25, v25, v27
	v_pack_b32_f16 v19, v19, v20
	v_add_f16_e32 v27, v157, v110
	v_add_f16_e32 v168, v170, v168
	;; [unrolled: 1-line block ×3, first 2 shown]
	v_pack_b32_f16 v20, v98, v102
	v_pack_b32_f16 v26, v87, v91
	v_add_f16_e32 v22, v60, v22
	v_add_f16_e32 v21, v23, v21
	ds_write2_b32 v24, v19, v25 offset1:1
	ds_write2_b32 v24, v26, v20 offset0:2 offset1:3
	v_pack_b32_f16 v19, v141, v154
	v_pack_b32_f16 v20, v27, v112
	;; [unrolled: 1-line block ×6, first 2 shown]
	v_perm_b32 v28, v67, v66, 0x5040100
	v_perm_b32 v29, v65, v64, 0x5040100
	v_pack_b32_f16 v21, v21, v22
	ds_write2_b32 v24, v20, v19 offset0:4 offset1:5
	ds_write2_b32 v24, v25, v23 offset0:6 offset1:7
	;; [unrolled: 1-line block ×4, first 2 shown]
	ds_write_b32 v24, v21 offset:48
.LBB0_21:
	s_or_b32 exec_lo, exec_lo, s2
	v_add_nc_u32_e32 v19, 0x980, v31
	v_add_nc_u32_e32 v21, 0xf00, v31
	;; [unrolled: 1-line block ×4, first 2 shown]
	s_waitcnt lgkmcnt(0)
	s_barrier
	buffer_gl0_inv
	ds_read2_b32 v[23:24], v31 offset1:156
	ds_read2_b32 v[19:20], v19 offset0:16 offset1:250
	ds_read2_b32 v[27:28], v21 offset0:54 offset1:210
	;; [unrolled: 1-line block ×4, first 2 shown]
	s_and_saveexec_b32 s2, s0
	s_cbranch_execz .LBB0_23
; %bb.22:
	ds_read_b32 v64, v31 offset:3120
	ds_read_b32 v66, v31 offset:6552
	s_waitcnt lgkmcnt(1)
	v_lshrrev_b32_e32 v65, 16, v64
	s_waitcnt lgkmcnt(0)
	v_lshrrev_b32_e32 v67, 16, v66
.LBB0_23:
	s_or_b32 exec_lo, exec_lo, s2
	s_waitcnt lgkmcnt(2)
	v_lshrrev_b32_e32 v34, 16, v27
	v_lshrrev_b32_e32 v30, 16, v20
	;; [unrolled: 1-line block ×3, first 2 shown]
	s_waitcnt lgkmcnt(0)
	v_lshrrev_b32_e32 v54, 16, v25
	v_mul_f16_sdwa v57, v49, v20 dst_sel:DWORD dst_unused:UNUSED_PAD src0_sel:WORD_1 src1_sel:DWORD
	v_mul_f16_sdwa v58, v48, v34 dst_sel:DWORD dst_unused:UNUSED_PAD src0_sel:WORD_1 src1_sel:DWORD
	;; [unrolled: 1-line block ×3, first 2 shown]
	v_lshrrev_b32_e32 v59, 16, v26
	v_mul_f16_sdwa v60, v48, v27 dst_sel:DWORD dst_unused:UNUSED_PAD src0_sel:WORD_1 src1_sel:DWORD
	v_lshrrev_b32_e32 v29, 16, v23
	v_fmac_f16_e32 v58, v48, v27
	v_mul_f16_sdwa v27, v41, v52 dst_sel:DWORD dst_unused:UNUSED_PAD src0_sel:WORD_1 src1_sel:DWORD
	v_fmac_f16_e32 v56, v49, v20
	v_fma_f16 v20, v49, v30, -v57
	v_fma_f16 v30, v48, v34, -v60
	v_mul_f16_sdwa v34, v41, v28 dst_sel:DWORD dst_unused:UNUSED_PAD src0_sel:WORD_1 src1_sel:DWORD
	v_mul_f16_sdwa v48, v42, v54 dst_sel:DWORD dst_unused:UNUSED_PAD src0_sel:WORD_1 src1_sel:DWORD
	;; [unrolled: 1-line block ×3, first 2 shown]
	v_fmac_f16_e32 v27, v41, v28
	v_mul_f16_sdwa v28, v39, v59 dst_sel:DWORD dst_unused:UNUSED_PAD src0_sel:WORD_1 src1_sel:DWORD
	v_fma_f16 v34, v41, v52, -v34
	v_fmac_f16_e32 v48, v42, v25
	v_fma_f16 v25, v42, v54, -v49
	v_mul_f16_sdwa v41, v39, v26 dst_sel:DWORD dst_unused:UNUSED_PAD src0_sel:WORD_1 src1_sel:DWORD
	v_fmac_f16_e32 v28, v39, v26
	v_mul_f16_sdwa v26, v37, v67 dst_sel:DWORD dst_unused:UNUSED_PAD src0_sel:WORD_1 src1_sel:DWORD
	v_mul_f16_sdwa v42, v37, v66 dst_sel:DWORD dst_unused:UNUSED_PAD src0_sel:WORD_1 src1_sel:DWORD
	v_sub_f16_e32 v49, v23, v56
	v_lshrrev_b32_e32 v33, 16, v24
	v_lshrrev_b32_e32 v35, 16, v21
	;; [unrolled: 1-line block ×4, first 2 shown]
	v_fma_f16 v39, v39, v59, -v41
	v_fmac_f16_e32 v26, v37, v66
	v_fma_f16 v37, v37, v67, -v42
	v_fma_f16 v42, v23, 2.0, -v49
	v_sub_f16_e32 v23, v22, v48
	v_sub_f16_e32 v41, v29, v20
	v_sub_f16_e32 v52, v24, v58
	v_sub_f16_e32 v56, v33, v30
	v_sub_f16_e32 v57, v21, v27
	v_sub_f16_e32 v34, v35, v34
	v_sub_f16_e32 v25, v53, v25
	v_fma_f16 v20, v22, 2.0, -v23
	v_sub_f16_e32 v22, v19, v28
	v_sub_f16_e32 v28, v55, v39
	v_fma_f16 v54, v29, 2.0, -v41
	v_sub_f16_e32 v26, v64, v26
	v_sub_f16_e32 v30, v65, v37
	v_fma_f16 v58, v24, 2.0, -v52
	v_fma_f16 v33, v33, 2.0, -v56
	;; [unrolled: 1-line block ×9, first 2 shown]
	v_pack_b32_f16 v37, v42, v54
	v_pack_b32_f16 v39, v49, v41
	;; [unrolled: 1-line block ×10, first 2 shown]
	s_barrier
	buffer_gl0_inv
	ds_write2_b32 v43, v37, v39 offset1:13
	ds_write2_b32 v44, v33, v41 offset1:13
	;; [unrolled: 1-line block ×5, first 2 shown]
	s_and_saveexec_b32 s2, s0
	s_cbranch_execz .LBB0_25
; %bb.24:
	v_mov_b32_e32 v33, 2
	v_perm_b32 v34, v29, v24, 0x5040100
	v_perm_b32 v35, v30, v26, 0x5040100
	v_lshlrev_b32_sdwa v33, v33, v40 dst_sel:DWORD dst_unused:UNUSED_PAD src0_sel:DWORD src1_sel:WORD_0
	ds_write2_b32 v33, v34, v35 offset1:13
.LBB0_25:
	s_or_b32 exec_lo, exec_lo, s2
	s_waitcnt lgkmcnt(0)
	s_barrier
	buffer_gl0_inv
	ds_read_b32 v33, v31
	ds_read_b32 v40, v31 offset:1144
	ds_read_b32 v39, v31 offset:2288
	;; [unrolled: 1-line block ×5, first 2 shown]
	s_and_saveexec_b32 s0, s1
	s_cbranch_execz .LBB0_27
; %bb.26:
	ds_read_b32 v20, v31 offset:624
	ds_read_b32 v23, v31 offset:1768
	ds_read_b32 v19, v31 offset:2912
	ds_read_b32 v22, v31 offset:4056
	ds_read_b32 v24, v31 offset:5200
	ds_read_b32 v26, v31 offset:6344
	s_waitcnt lgkmcnt(5)
	v_lshrrev_b32_e32 v21, 16, v20
	s_waitcnt lgkmcnt(4)
	v_lshrrev_b32_e32 v25, 16, v23
	;; [unrolled: 2-line block ×6, first 2 shown]
.LBB0_27:
	s_or_b32 exec_lo, exec_lo, s0
	s_waitcnt lgkmcnt(4)
	v_lshrrev_b32_e32 v41, 16, v40
	s_waitcnt lgkmcnt(3)
	v_lshrrev_b32_e32 v43, 16, v39
	;; [unrolled: 2-line block ×4, first 2 shown]
	v_mul_f16_sdwa v47, v4, v40 dst_sel:DWORD dst_unused:UNUSED_PAD src0_sel:WORD_1 src1_sel:DWORD
	v_mul_f16_sdwa v46, v4, v41 dst_sel:DWORD dst_unused:UNUSED_PAD src0_sel:WORD_1 src1_sel:DWORD
	;; [unrolled: 1-line block ×4, first 2 shown]
	s_waitcnt lgkmcnt(0)
	v_lshrrev_b32_e32 v48, 16, v34
	v_lshrrev_b32_e32 v42, 16, v33
	v_fmac_f16_e32 v46, v4, v40
	v_mul_f16_sdwa v40, v6, v44 dst_sel:DWORD dst_unused:UNUSED_PAD src0_sel:WORD_1 src1_sel:DWORD
	v_fmac_f16_e32 v49, v5, v39
	v_mul_f16_sdwa v39, v7, v45 dst_sel:DWORD dst_unused:UNUSED_PAD src0_sel:WORD_1 src1_sel:DWORD
	v_fma_f16 v4, v4, v41, -v47
	v_mul_f16_sdwa v41, v6, v37 dst_sel:DWORD dst_unused:UNUSED_PAD src0_sel:WORD_1 src1_sel:DWORD
	v_fmac_f16_e32 v40, v6, v37
	v_mul_f16_sdwa v37, v7, v35 dst_sel:DWORD dst_unused:UNUSED_PAD src0_sel:WORD_1 src1_sel:DWORD
	v_fmac_f16_e32 v39, v7, v35
	v_fma_f16 v5, v5, v43, -v52
	v_mul_f16_sdwa v35, v50, v48 dst_sel:DWORD dst_unused:UNUSED_PAD src0_sel:WORD_1 src1_sel:DWORD
	v_fma_f16 v6, v6, v44, -v41
	v_mul_f16_sdwa v41, v50, v34 dst_sel:DWORD dst_unused:UNUSED_PAD src0_sel:WORD_1 src1_sel:DWORD
	v_fma_f16 v7, v7, v45, -v37
	v_add_f16_e32 v37, v49, v39
	v_fmac_f16_e32 v35, v50, v34
	v_add_f16_e32 v34, v33, v49
	v_fma_f16 v41, v50, v48, -v41
	v_add_f16_e32 v43, v5, v7
	v_fmac_f16_e32 v33, -0.5, v37
	v_sub_f16_e32 v37, v5, v7
	v_add_f16_e32 v5, v42, v5
	v_add_f16_e32 v34, v34, v39
	v_fmac_f16_e32 v42, -0.5, v43
	v_sub_f16_e32 v39, v49, v39
	v_fmamk_f16 v43, v37, 0xbaee, v33
	v_fmac_f16_e32 v33, 0x3aee, v37
	v_add_f16_e32 v37, v6, v41
	v_add_f16_e32 v44, v40, v35
	v_add_f16_e32 v45, v4, v6
	v_add_f16_e32 v5, v5, v7
	v_fmamk_f16 v7, v39, 0x3aee, v42
	v_fmac_f16_e32 v4, -0.5, v37
	v_sub_f16_e32 v37, v40, v35
	v_add_f16_e32 v40, v46, v40
	v_fmac_f16_e32 v46, -0.5, v44
	v_sub_f16_e32 v6, v6, v41
	v_fmac_f16_e32 v42, 0xbaee, v39
	v_fmamk_f16 v39, v37, 0x3aee, v4
	v_fmac_f16_e32 v4, 0xbaee, v37
	v_add_f16_e32 v35, v40, v35
	v_fmamk_f16 v37, v6, 0xbaee, v46
	v_fmac_f16_e32 v46, 0x3aee, v6
	v_mul_f16_e32 v6, 0xbaee, v39
	v_mul_f16_e32 v39, 0.5, v39
	v_mul_f16_e32 v40, 0xbaee, v4
	v_mul_f16_e32 v4, -0.5, v4
	v_add_f16_e32 v41, v45, v41
	v_fmac_f16_e32 v6, 0.5, v37
	v_fmac_f16_e32 v39, 0x3aee, v37
	v_fmac_f16_e32 v40, -0.5, v46
	v_fmac_f16_e32 v4, 0x3aee, v46
	v_add_f16_e32 v44, v34, v35
	v_add_f16_e32 v37, v43, v6
	;; [unrolled: 1-line block ×6, first 2 shown]
	v_sub_f16_e32 v34, v34, v35
	v_sub_f16_e32 v5, v5, v41
	;; [unrolled: 1-line block ×6, first 2 shown]
	v_pack_b32_f16 v35, v44, v46
	v_pack_b32_f16 v37, v37, v47
	v_pack_b32_f16 v39, v45, v48
	v_pack_b32_f16 v5, v34, v5
	v_pack_b32_f16 v6, v6, v7
	v_pack_b32_f16 v4, v33, v4
	s_barrier
	buffer_gl0_inv
	ds_write2_b32 v51, v35, v37 offset1:26
	ds_write2_b32 v51, v39, v5 offset0:52 offset1:78
	ds_write2_b32 v51, v6, v4 offset0:104 offset1:130
	s_and_saveexec_b32 s0, s1
	s_cbranch_execz .LBB0_29
; %bb.28:
	v_mul_f16_sdwa v7, v2, v22 dst_sel:DWORD dst_unused:UNUSED_PAD src0_sel:WORD_1 src1_sel:DWORD
	v_mul_f16_sdwa v33, v36, v26 dst_sel:DWORD dst_unused:UNUSED_PAD src0_sel:WORD_1 src1_sel:DWORD
	;; [unrolled: 1-line block ×7, first 2 shown]
	v_fma_f16 v7, v2, v28, -v7
	v_fma_f16 v30, v36, v30, -v33
	;; [unrolled: 1-line block ×4, first 2 shown]
	v_mul_f16_sdwa v33, v0, v25 dst_sel:DWORD dst_unused:UNUSED_PAD src0_sel:WORD_1 src1_sel:DWORD
	v_fmac_f16_e32 v6, v2, v22
	v_fmac_f16_e32 v34, v36, v26
	v_fma_f16 v2, v0, v25, -v35
	v_add_f16_e32 v22, v30, v7
	v_mul_f16_sdwa v25, v1, v27 dst_sel:DWORD dst_unused:UNUSED_PAD src0_sel:WORD_1 src1_sel:DWORD
	v_mul_f16_sdwa v26, v3, v29 dst_sel:DWORD dst_unused:UNUSED_PAD src0_sel:WORD_1 src1_sel:DWORD
	v_add_f16_e32 v28, v5, v4
	v_fmac_f16_e32 v33, v0, v23
	v_fma_f16 v22, -0.5, v22, v2
	v_sub_f16_e32 v23, v6, v34
	v_fmac_f16_e32 v25, v1, v19
	v_fmac_f16_e32 v26, v3, v24
	v_add_f16_e32 v0, v34, v6
	v_fma_f16 v19, -0.5, v28, v21
	v_fmamk_f16 v3, v23, 0xbaee, v22
	v_fmac_f16_e32 v22, 0x3aee, v23
	v_sub_f16_e32 v23, v25, v26
	v_fma_f16 v0, -0.5, v0, v33
	v_sub_f16_e32 v1, v7, v30
	v_add_f16_e32 v21, v4, v21
	v_add_f16_e32 v2, v7, v2
	v_fmamk_f16 v28, v23, 0xbaee, v19
	v_fmac_f16_e32 v19, 0x3aee, v23
	v_add_f16_e32 v23, v26, v25
	v_fmamk_f16 v24, v1, 0x3aee, v0
	v_fmac_f16_e32 v0, 0xbaee, v1
	v_mul_f16_e32 v1, 0.5, v22
	v_sub_f16_e32 v4, v4, v5
	v_fma_f16 v7, -0.5, v23, v20
	v_add_f16_e32 v5, v5, v21
	v_mul_f16_e32 v21, 0xbaee, v22
	v_fmac_f16_e32 v1, 0x3aee, v0
	v_mul_f16_e32 v27, -0.5, v3
	v_fmamk_f16 v22, v4, 0x3aee, v7
	v_fmac_f16_e32 v7, 0xbaee, v4
	v_fmac_f16_e32 v21, 0.5, v0
	v_add_f16_e32 v0, v25, v20
	v_add_f16_e32 v4, v6, v33
	v_mul_f16_e32 v3, 0xbaee, v3
	v_add_f16_e32 v2, v30, v2
	v_fmac_f16_e32 v27, 0x3aee, v24
	v_add_f16_e32 v0, v26, v0
	v_add_f16_e32 v4, v34, v4
	v_fmac_f16_e32 v3, -0.5, v24
	v_sub_f16_e32 v35, v19, v1
	v_sub_f16_e32 v6, v5, v2
	;; [unrolled: 1-line block ×3, first 2 shown]
	v_add_f16_e32 v1, v19, v1
	v_add_f16_e32 v2, v5, v2
	v_mov_b32_e32 v5, 2
	v_add_f16_e32 v19, v0, v4
	v_add_f16_e32 v7, v7, v21
	v_sub_f16_e32 v20, v22, v3
	v_add_f16_e32 v24, v28, v27
	v_add_f16_e32 v3, v22, v3
	v_sub_f16_e32 v0, v0, v4
	v_sub_f16_e32 v29, v28, v27
	v_lshlrev_b32_sdwa v4, v5, v38 dst_sel:DWORD dst_unused:UNUSED_PAD src0_sel:DWORD src1_sel:WORD_0
	v_pack_b32_f16 v2, v19, v2
	v_pack_b32_f16 v1, v7, v1
	;; [unrolled: 1-line block ×6, first 2 shown]
	ds_write2_b32 v4, v2, v1 offset1:26
	ds_write2_b32 v4, v3, v0 offset0:52 offset1:78
	ds_write2_b32 v4, v5, v6 offset0:104 offset1:130
.LBB0_29:
	s_or_b32 exec_lo, exec_lo, s0
	v_add_nc_u32_e32 v0, 0x400, v31
	s_waitcnt lgkmcnt(0)
	s_barrier
	buffer_gl0_inv
	ds_read2_b32 v[1:2], v31 offset1:156
	ds_read2_b32 v[3:4], v0 offset0:56 offset1:212
	v_add_nc_u32_e32 v5, 0xc00, v31
	v_add_nc_u32_e32 v19, 0x1000, v31
	;; [unrolled: 1-line block ×3, first 2 shown]
	ds_read_b32 v7, v31 offset:2496
	ds_read2_b32 v[5:6], v5 offset0:12 offset1:168
	ds_read2_b32 v[19:20], v19 offset0:68 offset1:224
	;; [unrolled: 1-line block ×3, first 2 shown]
	s_waitcnt lgkmcnt(5)
	v_lshrrev_b32_e32 v23, 16, v2
	s_waitcnt lgkmcnt(4)
	v_lshrrev_b32_e32 v27, 16, v3
	v_mul_f16_sdwa v25, v12, v2 dst_sel:DWORD dst_unused:UNUSED_PAD src0_sel:WORD_1 src1_sel:DWORD
	v_lshrrev_b32_e32 v28, 16, v4
	v_mul_f16_sdwa v38, v14, v4 dst_sel:DWORD dst_unused:UNUSED_PAD src0_sel:WORD_1 src1_sel:DWORD
	s_waitcnt lgkmcnt(2)
	v_lshrrev_b32_e32 v29, 16, v5
	v_mul_f16_sdwa v37, v12, v23 dst_sel:DWORD dst_unused:UNUSED_PAD src0_sel:WORD_1 src1_sel:DWORD
	v_mul_f16_sdwa v39, v13, v27 dst_sel:DWORD dst_unused:UNUSED_PAD src0_sel:WORD_1 src1_sel:DWORD
	v_lshrrev_b32_e32 v30, 16, v6
	v_fma_f16 v23, v12, v23, -v25
	v_mul_f16_sdwa v25, v13, v3 dst_sel:DWORD dst_unused:UNUSED_PAD src0_sel:WORD_1 src1_sel:DWORD
	v_mul_f16_sdwa v40, v14, v28 dst_sel:DWORD dst_unused:UNUSED_PAD src0_sel:WORD_1 src1_sel:DWORD
	v_fmac_f16_e32 v37, v12, v2
	v_fmac_f16_e32 v39, v13, v3
	v_mul_f16_sdwa v3, v8, v29 dst_sel:DWORD dst_unused:UNUSED_PAD src0_sel:WORD_1 src1_sel:DWORD
	v_lshrrev_b32_e32 v24, 16, v7
	v_fma_f16 v2, v13, v27, -v25
	v_fmac_f16_e32 v40, v14, v4
	v_fma_f16 v4, v14, v28, -v38
	v_mul_f16_sdwa v12, v8, v5 dst_sel:DWORD dst_unused:UNUSED_PAD src0_sel:WORD_1 src1_sel:DWORD
	v_fmac_f16_e32 v3, v8, v5
	v_mul_f16_sdwa v5, v9, v30 dst_sel:DWORD dst_unused:UNUSED_PAD src0_sel:WORD_1 src1_sel:DWORD
	v_add_f16_e32 v13, v1, v37
	v_add_f16_sdwa v14, v1, v23 dst_sel:DWORD dst_unused:UNUSED_PAD src0_sel:WORD_1 src1_sel:DWORD
	v_mul_f16_sdwa v26, v15, v7 dst_sel:DWORD dst_unused:UNUSED_PAD src0_sel:WORD_1 src1_sel:DWORD
	s_waitcnt lgkmcnt(1)
	v_lshrrev_b32_e32 v33, 16, v19
	v_mul_f16_sdwa v41, v15, v24 dst_sel:DWORD dst_unused:UNUSED_PAD src0_sel:WORD_1 src1_sel:DWORD
	v_fma_f16 v8, v8, v29, -v12
	v_mul_f16_sdwa v12, v9, v6 dst_sel:DWORD dst_unused:UNUSED_PAD src0_sel:WORD_1 src1_sel:DWORD
	v_fmac_f16_e32 v5, v9, v6
	v_add_f16_e32 v6, v13, v39
	v_add_f16_e32 v13, v14, v2
	v_lshrrev_b32_e32 v34, 16, v20
	v_fmac_f16_e32 v41, v15, v7
	v_fma_f16 v7, v15, v24, -v26
	v_mul_f16_sdwa v14, v10, v33 dst_sel:DWORD dst_unused:UNUSED_PAD src0_sel:WORD_1 src1_sel:DWORD
	v_fma_f16 v9, v9, v30, -v12
	v_mul_f16_sdwa v12, v10, v19 dst_sel:DWORD dst_unused:UNUSED_PAD src0_sel:WORD_1 src1_sel:DWORD
	v_add_f16_e32 v13, v13, v4
	v_add_f16_e32 v6, v6, v40
	v_fmac_f16_e32 v14, v10, v19
	v_mul_f16_sdwa v15, v11, v34 dst_sel:DWORD dst_unused:UNUSED_PAD src0_sel:WORD_1 src1_sel:DWORD
	v_fma_f16 v10, v10, v33, -v12
	v_add_f16_e32 v12, v13, v7
	v_mul_f16_sdwa v13, v11, v20 dst_sel:DWORD dst_unused:UNUSED_PAD src0_sel:WORD_1 src1_sel:DWORD
	s_waitcnt lgkmcnt(0)
	v_lshrrev_b32_e32 v35, 16, v21
	v_lshrrev_b32_e32 v36, 16, v22
	v_add_f16_e32 v6, v6, v41
	v_fmac_f16_e32 v15, v11, v20
	v_add_f16_e32 v12, v12, v8
	v_fma_f16 v11, v11, v34, -v13
	v_mul_f16_sdwa v13, v18, v22 dst_sel:DWORD dst_unused:UNUSED_PAD src0_sel:WORD_1 src1_sel:DWORD
	v_mul_f16_sdwa v19, v17, v35 dst_sel:DWORD dst_unused:UNUSED_PAD src0_sel:WORD_1 src1_sel:DWORD
	v_add_f16_e32 v6, v6, v3
	v_add_f16_e32 v12, v12, v9
	v_mul_f16_sdwa v20, v18, v36 dst_sel:DWORD dst_unused:UNUSED_PAD src0_sel:WORD_1 src1_sel:DWORD
	v_fma_f16 v13, v18, v36, -v13
	v_fmac_f16_e32 v19, v17, v21
	v_add_f16_e32 v6, v6, v5
	v_mul_f16_sdwa v21, v17, v21 dst_sel:DWORD dst_unused:UNUSED_PAD src0_sel:WORD_1 src1_sel:DWORD
	v_add_f16_e32 v12, v12, v10
	v_fmac_f16_e32 v20, v18, v22
	v_sub_f16_e32 v18, v23, v13
	v_add_f16_e32 v6, v6, v14
	v_fma_f16 v17, v17, v35, -v21
	v_add_f16_e32 v12, v12, v11
	v_add_f16_e32 v21, v37, v20
	v_mul_f16_e32 v22, 0xb853, v18
	v_add_f16_e32 v6, v6, v15
	v_add_f16_e32 v23, v23, v13
	;; [unrolled: 1-line block ×3, first 2 shown]
	v_sub_f16_e32 v24, v37, v20
	v_fmamk_f16 v25, v21, 0x3abb, v22
	v_add_f16_e32 v6, v6, v19
	v_mul_f16_e32 v26, 0x3abb, v23
	v_add_f16_e32 v12, v12, v13
	v_mul_f16_e32 v27, 0x36a6, v23
	;; [unrolled: 2-line block ×3, first 2 shown]
	v_mul_f16_e32 v30, 0xbbeb, v18
	v_mul_f16_e32 v34, 0xb08e, v23
	;; [unrolled: 1-line block ×6, first 2 shown]
	v_sub_f16_e32 v45, v2, v17
	v_add_f16_e32 v2, v2, v17
	v_add_f16_e32 v6, v6, v20
	v_fmamk_f16 v20, v24, 0x3853, v26
	v_fma_f16 v22, v21, 0x3abb, -v22
	v_fmac_f16_e32 v26, 0xb853, v24
	v_fmamk_f16 v28, v21, 0x36a6, v25
	v_fmamk_f16 v29, v24, 0x3b47, v27
	v_fma_f16 v25, v21, 0x36a6, -v25
	v_fmac_f16_e32 v27, 0xbb47, v24
	v_fmamk_f16 v33, v21, 0xb08e, v30
	;; [unrolled: 4-line block ×4, first 2 shown]
	v_fmamk_f16 v44, v24, 0x3482, v23
	v_add_f16_e32 v46, v39, v19
	v_mul_f16_e32 v17, 0xbb47, v45
	v_fma_f16 v18, v21, 0xbbad, -v18
	v_fmac_f16_e32 v23, 0xb482, v24
	v_sub_f16_e32 v19, v39, v19
	v_mul_f16_e32 v21, 0x36a6, v2
	v_add_f16_sdwa v20, v1, v20 dst_sel:DWORD dst_unused:UNUSED_PAD src0_sel:WORD_1 src1_sel:DWORD
	v_add_f16_e32 v22, v1, v22
	v_add_f16_sdwa v26, v1, v26 dst_sel:DWORD dst_unused:UNUSED_PAD src0_sel:WORD_1 src1_sel:DWORD
	v_add_f16_e32 v28, v1, v28
	;; [unrolled: 2-line block ×8, first 2 shown]
	v_add_f16_sdwa v44, v1, v44 dst_sel:DWORD dst_unused:UNUSED_PAD src0_sel:WORD_1 src1_sel:DWORD
	v_fmamk_f16 v24, v46, 0x36a6, v17
	v_add_f16_e32 v18, v1, v18
	v_add_f16_sdwa v1, v1, v23 dst_sel:DWORD dst_unused:UNUSED_PAD src0_sel:WORD_1 src1_sel:DWORD
	v_mul_f16_e32 v23, 0xba0c, v45
	v_fmamk_f16 v39, v19, 0x3b47, v21
	v_add_f16_e32 v13, v24, v13
	v_fma_f16 v17, v46, 0x36a6, -v17
	v_fmac_f16_e32 v21, 0xbb47, v19
	v_fmamk_f16 v24, v46, 0xb93d, v23
	v_add_f16_e32 v20, v39, v20
	v_mul_f16_e32 v39, 0xb93d, v2
	v_add_f16_e32 v17, v17, v22
	v_add_f16_e32 v21, v21, v26
	;; [unrolled: 1-line block ×3, first 2 shown]
	v_mul_f16_e32 v24, 0x3482, v45
	v_fmamk_f16 v26, v19, 0x3a0c, v39
	v_fma_f16 v23, v46, 0xb93d, -v23
	v_fmac_f16_e32 v39, 0xba0c, v19
	v_mul_f16_e32 v28, 0xbbad, v2
	v_fmamk_f16 v47, v46, 0xbbad, v24
	v_add_f16_e32 v26, v26, v29
	v_add_f16_e32 v23, v23, v25
	;; [unrolled: 1-line block ×3, first 2 shown]
	v_fmamk_f16 v27, v19, 0xb482, v28
	v_add_f16_e32 v29, v47, v33
	v_mul_f16_e32 v33, 0x3beb, v45
	v_fma_f16 v24, v46, 0xbbad, -v24
	v_fmac_f16_e32 v28, 0x3482, v19
	v_add_f16_e32 v27, v27, v36
	v_mul_f16_e32 v36, 0xb08e, v2
	v_fmamk_f16 v39, v46, 0xb08e, v33
	v_add_f16_e32 v24, v24, v30
	v_add_f16_e32 v28, v28, v34
	v_mul_f16_e32 v30, 0x3853, v45
	v_fmamk_f16 v34, v19, 0xbbeb, v36
	v_fma_f16 v33, v46, 0xb08e, -v33
	v_fmac_f16_e32 v36, 0x3beb, v19
	v_add_f16_e32 v37, v39, v37
	v_fmamk_f16 v39, v46, 0x3abb, v30
	v_mul_f16_e32 v2, 0x3abb, v2
	v_add_f16_e32 v33, v33, v35
	v_add_f16_e32 v35, v36, v38
	v_sub_f16_e32 v38, v4, v11
	v_add_f16_e32 v4, v4, v11
	v_add_f16_e32 v34, v34, v42
	;; [unrolled: 1-line block ×3, first 2 shown]
	v_fmamk_f16 v39, v19, 0xb853, v2
	v_fma_f16 v30, v46, 0x3abb, -v30
	v_add_f16_e32 v11, v40, v15
	v_mul_f16_e32 v42, 0xbbeb, v38
	v_fmac_f16_e32 v2, 0x3853, v19
	v_sub_f16_e32 v15, v40, v15
	v_mul_f16_e32 v19, 0xb08e, v4
	v_add_f16_e32 v18, v30, v18
	v_fmamk_f16 v40, v11, 0xb08e, v42
	v_add_f16_e32 v1, v2, v1
	v_mul_f16_e32 v30, 0x3482, v38
	v_fmamk_f16 v2, v15, 0x3beb, v19
	v_fmac_f16_e32 v19, 0xbbeb, v15
	v_add_f16_e32 v13, v40, v13
	v_fma_f16 v40, v11, 0xb08e, -v42
	v_mul_f16_e32 v42, 0xbbad, v4
	v_add_f16_e32 v2, v2, v20
	v_fmamk_f16 v20, v11, 0xbbad, v30
	v_add_f16_e32 v19, v19, v21
	v_mul_f16_e32 v21, 0x3b47, v38
	v_add_f16_e32 v17, v40, v17
	v_fma_f16 v30, v11, 0xbbad, -v30
	v_add_f16_e32 v20, v20, v22
	v_fmamk_f16 v22, v15, 0xb482, v42
	v_fmamk_f16 v40, v11, 0x36a6, v21
	v_mul_f16_e32 v43, 0x36a6, v4
	v_add_f16_e32 v23, v30, v23
	v_mul_f16_e32 v30, 0xb853, v38
	v_add_f16_e32 v22, v22, v26
	v_add_f16_e32 v26, v40, v29
	v_fmamk_f16 v29, v15, 0xbb47, v43
	v_fma_f16 v21, v11, 0x36a6, -v21
	v_fmac_f16_e32 v43, 0x3b47, v15
	v_mul_f16_e32 v40, 0x3abb, v4
	v_mul_f16_e32 v38, 0xba0c, v38
	v_add_f16_e32 v27, v29, v27
	v_fmamk_f16 v29, v11, 0x3abb, v30
	v_add_f16_e32 v21, v21, v24
	v_add_f16_e32 v24, v43, v28
	v_fmamk_f16 v28, v15, 0x3853, v40
	v_fma_f16 v30, v11, 0x3abb, -v30
	v_fmac_f16_e32 v40, 0xb853, v15
	v_mul_f16_e32 v4, 0xb93d, v4
	v_fmac_f16_e32 v42, 0x3482, v15
	v_add_f16_e32 v28, v28, v34
	v_fmamk_f16 v34, v11, 0xb93d, v38
	v_add_f16_e32 v30, v30, v33
	v_add_f16_e32 v33, v40, v35
	v_sub_f16_e32 v35, v7, v10
	v_add_f16_e32 v7, v7, v10
	v_add_f16_e32 v29, v29, v37
	;; [unrolled: 1-line block ×3, first 2 shown]
	v_fmamk_f16 v36, v15, 0x3a0c, v4
	v_add_f16_e32 v37, v41, v14
	v_fmac_f16_e32 v4, 0xba0c, v15
	v_sub_f16_e32 v14, v41, v14
	v_mul_f16_e32 v15, 0xb93d, v7
	v_mul_f16_e32 v10, 0xba0c, v35
	v_fma_f16 v11, v11, 0xb93d, -v38
	v_add_f16_e32 v1, v4, v1
	v_add_f16_e32 v25, v42, v25
	v_fmamk_f16 v4, v14, 0x3a0c, v15
	v_fmamk_f16 v38, v37, 0xb93d, v10
	v_add_f16_e32 v11, v11, v18
	v_mul_f16_e32 v18, 0x3beb, v35
	v_fma_f16 v10, v37, 0xb93d, -v10
	v_fmac_f16_e32 v15, 0xba0c, v14
	v_add_f16_e32 v2, v4, v2
	v_mul_f16_e32 v4, 0xb08e, v7
	v_add_f16_e32 v13, v38, v13
	v_fmamk_f16 v38, v37, 0xb08e, v18
	v_add_f16_e32 v10, v10, v17
	v_add_f16_e32 v15, v15, v19
	v_mul_f16_e32 v17, 0xb853, v35
	v_fmamk_f16 v19, v14, 0xbbeb, v4
	v_add_f16_e32 v20, v38, v20
	v_fma_f16 v18, v37, 0xb08e, -v18
	v_fmac_f16_e32 v4, 0x3beb, v14
	v_fmamk_f16 v38, v37, 0x3abb, v17
	v_add_f16_e32 v19, v19, v22
	v_mul_f16_e32 v22, 0x3abb, v7
	v_add_f16_e32 v39, v39, v44
	v_add_f16_e32 v18, v18, v23
	;; [unrolled: 1-line block ×4, first 2 shown]
	v_mul_f16_e32 v25, 0xb482, v35
	v_fmamk_f16 v26, v14, 0x3853, v22
	v_fma_f16 v17, v37, 0x3abb, -v17
	v_fmac_f16_e32 v22, 0xb853, v14
	v_mul_f16_e32 v38, 0xbbad, v7
	v_add_f16_e32 v36, v36, v39
	v_fmamk_f16 v39, v37, 0xbbad, v25
	v_add_f16_e32 v26, v26, v27
	v_add_f16_e32 v17, v17, v21
	;; [unrolled: 1-line block ×3, first 2 shown]
	v_fmamk_f16 v22, v14, 0x3482, v38
	v_mul_f16_e32 v27, 0x3b47, v35
	v_fma_f16 v25, v37, 0xbbad, -v25
	v_mul_f16_e32 v7, 0x36a6, v7
	v_add_f16_e32 v24, v39, v29
	v_add_f16_e32 v22, v22, v28
	v_fmamk_f16 v28, v37, 0x36a6, v27
	v_add_f16_e32 v25, v25, v30
	v_sub_f16_e32 v30, v8, v9
	v_fmamk_f16 v29, v14, 0xbb47, v7
	v_add_f16_e32 v8, v8, v9
	v_add_f16_e32 v28, v28, v34
	;; [unrolled: 1-line block ×3, first 2 shown]
	v_mul_f16_e32 v35, 0xb482, v30
	v_fmac_f16_e32 v7, 0x3b47, v14
	v_fmac_f16_e32 v38, 0xb482, v14
	v_fma_f16 v9, v37, 0x36a6, -v27
	v_sub_f16_e32 v3, v3, v5
	v_fmamk_f16 v5, v34, 0xbbad, v35
	v_mul_f16_e32 v14, 0xbbad, v8
	v_add_f16_e32 v1, v7, v1
	v_mul_f16_e32 v7, 0x3853, v30
	v_add_f16_e32 v9, v9, v11
	v_add_f16_e32 v5, v5, v13
	v_fmamk_f16 v11, v3, 0x3482, v14
	v_fma_f16 v13, v34, 0xbbad, -v35
	v_fmac_f16_e32 v14, 0xb482, v3
	v_fmamk_f16 v27, v34, 0x3abb, v7
	v_mul_f16_e32 v35, 0x3abb, v8
	v_add_f16_e32 v2, v11, v2
	v_add_f16_e32 v10, v13, v10
	;; [unrolled: 1-line block ×4, first 2 shown]
	v_fmamk_f16 v14, v3, 0xb853, v35
	v_mul_f16_e32 v15, 0xba0c, v30
	v_fma_f16 v7, v34, 0x3abb, -v7
	v_mul_f16_e32 v20, 0xb93d, v8
	v_mul_f16_e32 v27, 0x3b47, v30
	v_add_f16_e32 v14, v14, v19
	v_fmamk_f16 v19, v34, 0xb93d, v15
	v_add_f16_e32 v7, v7, v18
	v_fmamk_f16 v18, v3, 0x3a0c, v20
	v_fma_f16 v15, v34, 0xb93d, -v15
	v_fmac_f16_e32 v20, 0xba0c, v3
	v_add_f16_e32 v19, v19, v23
	v_fmamk_f16 v23, v34, 0x36a6, v27
	v_add_f16_e32 v18, v18, v26
	v_mul_f16_e32 v26, 0x36a6, v8
	v_add_f16_e32 v33, v38, v33
	v_add_f16_e32 v15, v15, v17
	;; [unrolled: 1-line block ×3, first 2 shown]
	v_mul_f16_e32 v20, 0xbbeb, v30
	v_add_f16_e32 v21, v23, v24
	v_fmamk_f16 v23, v3, 0xbb47, v26
	v_fma_f16 v24, v34, 0x36a6, -v27
	v_fmac_f16_e32 v26, 0x3b47, v3
	v_mul_f16_e32 v8, 0xb08e, v8
	v_add_f16_e32 v29, v29, v36
	v_fmamk_f16 v27, v34, 0xb08e, v20
	v_add_f16_e32 v22, v23, v22
	v_add_f16_e32 v23, v24, v25
	;; [unrolled: 1-line block ×3, first 2 shown]
	v_fmamk_f16 v26, v3, 0x3beb, v8
	v_fma_f16 v20, v34, 0xb08e, -v20
	v_fmac_f16_e32 v8, 0xbbeb, v3
	v_fmac_f16_e32 v35, 0x3853, v3
	v_add_f16_e32 v25, v27, v28
	v_pack_b32_f16 v3, v6, v12
	v_pack_b32_f16 v2, v5, v2
	v_add_f16_e32 v12, v26, v29
	v_pack_b32_f16 v5, v13, v14
	v_pack_b32_f16 v6, v19, v18
	v_add_f16_e32 v9, v20, v9
	v_add_f16_e32 v1, v8, v1
	;; [unrolled: 1-line block ×3, first 2 shown]
	ds_write2_b32 v31, v3, v2 offset1:156
	ds_write2_b32 v0, v5, v6 offset0:56 offset1:212
	v_pack_b32_f16 v0, v21, v22
	v_pack_b32_f16 v2, v25, v12
	v_add_nc_u32_e32 v13, 0xe00, v31
	v_add_nc_u32_e32 v12, 0x1200, v31
	v_pack_b32_f16 v1, v9, v1
	v_pack_b32_f16 v3, v23, v24
	;; [unrolled: 1-line block ×5, first 2 shown]
	ds_write_b32 v31, v0 offset:2496
	ds_write_b32 v31, v2 offset:3120
	ds_write2_b32 v13, v1, v3 offset0:40 offset1:196
	ds_write2_b32 v12, v5, v4 offset0:96 offset1:252
	ds_write_b32 v31, v6 offset:6240
	s_waitcnt lgkmcnt(0)
	s_barrier
	buffer_gl0_inv
	s_and_b32 exec_lo, exec_lo, vcc_lo
	s_cbranch_execz .LBB0_31
; %bb.30:
	s_clause 0x3
	global_load_dword v14, v31, s[14:15]
	global_load_dword v15, v31, s[14:15] offset:528
	global_load_dword v20, v31, s[14:15] offset:1056
	;; [unrolled: 1-line block ×3, first 2 shown]
	v_add_co_u32 v10, s0, s14, v31
	v_add_co_ci_u32_e64 v11, null, s15, 0, s0
	v_add_nc_u32_e32 v0, 0x200, v31
	v_add_co_u32 v17, vcc_lo, 0x800, v10
	v_add_co_ci_u32_e32 v18, vcc_lo, 0, v11, vcc_lo
	v_add_nc_u32_e32 v1, 0x600, v31
	v_mad_u64_u32 v[8:9], null, s6, v16, 0
	s_clause 0x1
	global_load_dword v24, v[17:18], off offset:64
	global_load_dword v25, v[17:18], off offset:592
	ds_read_b32 v26, v31
	v_add_nc_u32_e32 v19, 0xa00, v31
	ds_read2_b32 v[4:5], v0 offset0:4 offset1:136
	ds_read2_b32 v[2:3], v1 offset0:12 offset1:144
	;; [unrolled: 1-line block ×3, first 2 shown]
	v_mad_u64_u32 v[27:28], null, s7, v16, v[9:10]
	v_mad_u64_u32 v[6:7], null, s4, v32, 0
	v_add_co_u32 v28, vcc_lo, 0x1000, v10
	v_add_co_ci_u32_e32 v29, vcc_lo, 0, v11, vcc_lo
	v_mov_b32_e32 v9, v27
	s_clause 0x5
	global_load_dword v23, v[17:18], off offset:1120
	global_load_dword v21, v[17:18], off offset:1648
	;; [unrolled: 1-line block ×6, first 2 shown]
	v_mad_u64_u32 v[32:33], null, s5, v32, v[7:8]
	s_mov_b32 s16, 0x58e9ebb6
	s_mov_b32 s17, 0x3f431877
	v_lshlrev_b64 v[8:9], 2, v[8:9]
	s_waitcnt lgkmcnt(3)
	v_lshrrev_b32_e32 v27, 16, v26
	s_mul_i32 s0, s5, 0x210
	s_waitcnt lgkmcnt(2)
	v_lshrrev_b32_e32 v28, 16, v4
	v_lshrrev_b32_e32 v29, 16, v5
	s_waitcnt lgkmcnt(1)
	v_lshrrev_b32_e32 v30, 16, v2
	v_mov_b32_e32 v7, v32
	v_lshrrev_b32_e32 v32, 16, v3
	s_waitcnt lgkmcnt(0)
	v_lshrrev_b32_e32 v44, 16, v0
	v_add_co_u32 v8, vcc_lo, s12, v8
	v_lshlrev_b64 v[6:7], 2, v[6:7]
	v_add_co_ci_u32_e32 v9, vcc_lo, s13, v9, vcc_lo
	s_mul_hi_u32 s19, s4, 0x210
	s_mul_i32 s18, s4, 0x210
	s_add_i32 s19, s19, s0
	v_add_co_u32 v6, vcc_lo, v8, v6
	v_add_co_ci_u32_e32 v7, vcc_lo, v9, v7, vcc_lo
	v_add_co_u32 v8, vcc_lo, v6, s18
	v_add_co_ci_u32_e32 v9, vcc_lo, s19, v7, vcc_lo
	s_waitcnt vmcnt(11)
	v_mul_f16_sdwa v33, v27, v14 dst_sel:DWORD dst_unused:UNUSED_PAD src0_sel:DWORD src1_sel:WORD_1
	v_mul_f16_sdwa v34, v26, v14 dst_sel:DWORD dst_unused:UNUSED_PAD src0_sel:DWORD src1_sel:WORD_1
	s_waitcnt vmcnt(10)
	v_mul_f16_sdwa v35, v28, v15 dst_sel:DWORD dst_unused:UNUSED_PAD src0_sel:DWORD src1_sel:WORD_1
	v_mul_f16_sdwa v36, v4, v15 dst_sel:DWORD dst_unused:UNUSED_PAD src0_sel:DWORD src1_sel:WORD_1
	s_waitcnt vmcnt(9)
	v_mul_f16_sdwa v37, v29, v20 dst_sel:DWORD dst_unused:UNUSED_PAD src0_sel:DWORD src1_sel:WORD_1
	v_mul_f16_sdwa v38, v5, v20 dst_sel:DWORD dst_unused:UNUSED_PAD src0_sel:DWORD src1_sel:WORD_1
	v_fmac_f16_e32 v33, v26, v14
	s_waitcnt vmcnt(8)
	v_mul_f16_sdwa v39, v30, v22 dst_sel:DWORD dst_unused:UNUSED_PAD src0_sel:DWORD src1_sel:WORD_1
	v_mul_f16_sdwa v40, v2, v22 dst_sel:DWORD dst_unused:UNUSED_PAD src0_sel:DWORD src1_sel:WORD_1
	v_fma_f16 v14, v14, v27, -v34
	v_fmac_f16_e32 v35, v4, v15
	v_fma_f16 v4, v15, v28, -v36
	v_fmac_f16_e32 v37, v5, v20
	v_fma_f16 v5, v20, v29, -v38
	v_cvt_f32_f16_e32 v15, v33
	v_fmac_f16_e32 v39, v2, v22
	v_fma_f16 v2, v22, v30, -v40
	v_cvt_f32_f16_e32 v14, v14
	v_cvt_f32_f16_e32 v22, v4
	v_cvt_f32_f16_e32 v33, v5
	v_cvt_f64_f32_e32 v[4:5], v15
	v_cvt_f32_f16_e32 v20, v35
	v_cvt_f64_f32_e32 v[14:15], v14
	v_cvt_f32_f16_e32 v30, v37
	v_cvt_f32_f16_e32 v36, v2
	s_waitcnt vmcnt(7)
	v_mul_f16_sdwa v35, v32, v24 dst_sel:DWORD dst_unused:UNUSED_PAD src0_sel:DWORD src1_sel:WORD_1
	v_cvt_f64_f32_e32 v[26:27], v20
	v_mul_f16_sdwa v2, v3, v24 dst_sel:DWORD dst_unused:UNUSED_PAD src0_sel:DWORD src1_sel:WORD_1
	v_cvt_f64_f32_e32 v[28:29], v22
	s_waitcnt vmcnt(6)
	v_mul_f16_sdwa v37, v44, v25 dst_sel:DWORD dst_unused:UNUSED_PAD src0_sel:DWORD src1_sel:WORD_1
	v_fmac_f16_e32 v35, v3, v24
	v_cvt_f32_f16_e32 v34, v39
	v_fma_f16 v20, v24, v32, -v2
	v_cvt_f64_f32_e32 v[2:3], v30
	v_cvt_f64_f32_e32 v[32:33], v33
	v_mul_f16_sdwa v45, v0, v25 dst_sel:DWORD dst_unused:UNUSED_PAD src0_sel:DWORD src1_sel:WORD_1
	v_fmac_f16_e32 v37, v0, v25
	v_cvt_f32_f16_e32 v0, v35
	v_cvt_f64_f32_e32 v[34:35], v34
	v_add_co_u32 v24, vcc_lo, v8, s18
	v_cvt_f32_f16_e32 v22, v37
	v_mul_f64 v[4:5], v[4:5], s[16:17]
	v_cvt_f64_f32_e32 v[38:39], v0
	v_mul_f64 v[14:15], v[14:15], s[16:17]
	v_fma_f16 v0, v25, v44, -v45
	v_cvt_f64_f32_e32 v[36:37], v36
	v_add_co_ci_u32_e32 v25, vcc_lo, s19, v9, vcc_lo
	v_mul_f64 v[26:27], v[26:27], s[16:17]
	v_mul_f64 v[28:29], v[28:29], s[16:17]
	v_cvt_f32_f16_e32 v0, v0
	v_add_co_u32 v44, vcc_lo, v24, s18
	v_add_co_ci_u32_e32 v45, vcc_lo, s19, v25, vcc_lo
	v_mul_f64 v[2:3], v[2:3], s[16:17]
	v_cvt_f64_f32_e32 v[46:47], v0
	v_mul_f64 v[32:33], v[32:33], s[16:17]
	v_cvt_f32_f16_e32 v20, v20
	v_mul_f64 v[34:35], v[34:35], s[16:17]
	v_cvt_f64_f32_e32 v[42:43], v22
	v_and_or_b32 v0, 0x1ff, v5, v4
	v_lshrrev_b32_e32 v4, 8, v5
	v_and_or_b32 v14, 0x1ff, v15, v14
	v_cvt_f64_f32_e32 v[40:41], v20
	v_mul_f64 v[36:37], v[36:37], s[16:17]
	v_cmp_ne_u32_e32 vcc_lo, 0, v0
	v_bfe_u32 v20, v5, 20, 11
	v_and_or_b32 v26, 0x1ff, v27, v26
	v_and_or_b32 v28, 0x1ff, v29, v28
	v_lshrrev_b32_e32 v22, 8, v15
	v_cndmask_b32_e64 v0, 0, 1, vcc_lo
	v_cmp_ne_u32_e32 vcc_lo, 0, v14
	v_bfe_u32 v30, v15, 20, 11
	v_lshrrev_b32_e32 v48, 8, v27
	v_and_or_b32 v2, 0x1ff, v3, v2
	v_bfe_u32 v53, v3, 20, 11
	v_cndmask_b32_e64 v14, 0, 1, vcc_lo
	v_cmp_ne_u32_e32 vcc_lo, 0, v26
	v_and_or_b32 v32, 0x1ff, v33, v32
	v_and_or_b32 v34, 0x1ff, v35, v34
	v_bfe_u32 v55, v33, 20, 11
	v_and_or_b32 v0, 0xffe, v4, v0
	v_cndmask_b32_e64 v26, 0, 1, vcc_lo
	v_cmp_ne_u32_e32 vcc_lo, 0, v28
	v_lshrrev_b32_e32 v52, 8, v3
	v_lshrrev_b32_e32 v54, 8, v33
	v_and_or_b32 v36, 0x1ff, v37, v36
	v_bfe_u32 v57, v35, 20, 11
	v_cndmask_b32_e64 v28, 0, 1, vcc_lo
	v_cmp_ne_u32_e32 vcc_lo, 0, v2
	v_bfe_u32 v59, v37, 20, 11
	v_sub_nc_u32_e32 v60, 0x3f1, v20
	v_add_nc_u32_e32 v20, 0xfffffc10, v20
	v_sub_nc_u32_e32 v64, 0x3f1, v53
	v_cndmask_b32_e64 v2, 0, 1, vcc_lo
	v_cmp_ne_u32_e32 vcc_lo, 0, v32
	v_sub_nc_u32_e32 v65, 0x3f1, v55
	v_and_or_b32 v14, 0xffe, v22, v14
	v_bfe_u32 v49, v27, 20, 11
	v_lshrrev_b32_e32 v50, 8, v29
	v_cndmask_b32_e64 v32, 0, 1, vcc_lo
	v_cmp_ne_u32_e32 vcc_lo, 0, v34
	v_lshrrev_b32_e32 v56, 8, v35
	v_lshrrev_b32_e32 v58, 8, v37
	v_sub_nc_u32_e32 v61, 0x3f1, v30
	v_add_nc_u32_e32 v30, 0xfffffc10, v30
	v_cndmask_b32_e64 v34, 0, 1, vcc_lo
	v_cmp_ne_u32_e32 vcc_lo, 0, v36
	v_sub_nc_u32_e32 v66, 0x3f1, v57
	v_sub_nc_u32_e32 v67, 0x3f1, v59
	v_and_or_b32 v26, 0xffe, v48, v26
	v_and_or_b32 v2, 0xffe, v52, v2
	v_cndmask_b32_e64 v36, 0, 1, vcc_lo
	v_cmp_ne_u32_e32 vcc_lo, 0, v0
	v_med3_i32 v52, v64, 0, 13
	v_and_or_b32 v32, 0xffe, v54, v32
	v_med3_i32 v54, v65, 0, 13
	v_or_b32_e32 v64, 0x1000, v0
	v_lshl_or_b32 v65, v20, 12, v0
	v_cndmask_b32_e64 v0, 0, 1, vcc_lo
	v_cmp_ne_u32_e32 vcc_lo, 0, v14
	v_bfe_u32 v51, v29, 20, 11
	v_sub_nc_u32_e32 v62, 0x3f1, v49
	v_add_nc_u32_e32 v49, 0xfffffc10, v49
	v_and_or_b32 v28, 0xffe, v50, v28
	v_and_or_b32 v34, 0xffe, v56, v34
	v_med3_i32 v56, v66, 0, 13
	v_and_or_b32 v36, 0xffe, v58, v36
	v_med3_i32 v58, v67, 0, 13
	v_or_b32_e32 v66, 0x1000, v14
	v_lshl_or_b32 v67, v30, 12, v14
	v_cndmask_b32_e64 v14, 0, 1, vcc_lo
	v_cmp_ne_u32_e32 vcc_lo, 0, v26
	v_mul_f64 v[38:39], v[38:39], s[16:17]
	v_sub_nc_u32_e32 v63, 0x3f1, v51
	v_add_nc_u32_e32 v51, 0xfffffc10, v51
	v_or_b32_e32 v68, 0x1000, v26
	v_lshl_or_b32 v69, v49, 12, v26
	v_cndmask_b32_e64 v26, 0, 1, vcc_lo
	v_cmp_ne_u32_e32 vcc_lo, 0, v28
	v_add_nc_u32_e32 v53, 0xfffffc10, v53
	v_or_b32_e32 v70, 0x1000, v28
	v_lshl_or_b32 v71, v51, 12, v28
	v_mul_f64 v[40:41], v[40:41], s[16:17]
	v_cndmask_b32_e64 v28, 0, 1, vcc_lo
	v_cmp_ne_u32_e32 vcc_lo, 0, v2
	v_add_nc_u32_e32 v55, 0xfffffc10, v55
	v_or_b32_e32 v72, 0x1000, v2
	v_lshl_or_b32 v73, v53, 12, v2
	v_add_nc_u32_e32 v57, 0xfffffc10, v57
	v_cndmask_b32_e64 v2, 0, 1, vcc_lo
	v_cmp_ne_u32_e32 vcc_lo, 0, v32
	v_or_b32_e32 v74, 0x1000, v32
	v_lshl_or_b32 v75, v55, 12, v32
	v_add_nc_u32_e32 v59, 0xfffffc10, v59
	v_and_or_b32 v38, 0x1ff, v39, v38
	v_cndmask_b32_e64 v32, 0, 1, vcc_lo
	v_cmp_ne_u32_e32 vcc_lo, 0, v34
	v_or_b32_e32 v76, 0x1000, v34
	v_lshl_or_b32 v77, v57, 12, v34
	v_or_b32_e32 v78, 0x1000, v36
	v_lshl_or_b32 v79, v59, 12, v36
	v_cndmask_b32_e64 v34, 0, 1, vcc_lo
	v_cmp_ne_u32_e32 vcc_lo, 0, v36
	v_med3_i32 v4, v60, 0, 13
	v_lshrrev_b32_e32 v60, 8, v39
	v_and_or_b32 v40, 0x1ff, v41, v40
	v_med3_i32 v22, v61, 0, 13
	v_cndmask_b32_e64 v36, 0, 1, vcc_lo
	v_cmp_ne_u32_e32 vcc_lo, 0, v38
	v_med3_i32 v50, v63, 0, 13
	v_bfe_u32 v61, v39, 20, 11
	v_bfe_u32 v63, v41, 20, 11
	v_lshrrev_b32_e32 v82, v4, v64
	v_cndmask_b32_e64 v38, 0, 1, vcc_lo
	v_cmp_ne_u32_e32 vcc_lo, 0, v40
	v_med3_i32 v48, v62, 0, 13
	v_lshrrev_b32_e32 v62, 8, v41
	v_sub_nc_u32_e32 v80, 0x3f1, v61
	v_and_or_b32 v38, 0xffe, v60, v38
	v_add_nc_u32_e32 v61, 0xfffffc10, v61
	v_cndmask_b32_e64 v40, 0, 1, vcc_lo
	v_sub_nc_u32_e32 v81, 0x3f1, v63
	v_lshrrev_b32_e32 v83, v22, v66
	v_lshlrev_b32_e32 v4, v4, v82
	v_cmp_ne_u32_e32 vcc_lo, 0, v38
	v_lshrrev_b32_e32 v84, v48, v68
	v_med3_i32 v60, v80, 0, 13
	v_and_or_b32 v40, 0xffe, v62, v40
	v_med3_i32 v62, v81, 0, 13
	v_lshlrev_b32_e32 v22, v22, v83
	v_or_b32_e32 v80, 0x1000, v38
	v_lshl_or_b32 v81, v61, 12, v38
	v_cndmask_b32_e64 v38, 0, 1, vcc_lo
	v_cmp_ne_u32_e32 vcc_lo, v4, v64
	v_lshrrev_b32_e32 v85, v50, v70
	v_lshlrev_b32_e32 v48, v48, v84
	v_lshrrev_b32_e32 v86, v52, v72
	v_lshrrev_b32_e32 v87, v54, v74
	v_cndmask_b32_e64 v4, 0, 1, vcc_lo
	v_cmp_ne_u32_e32 vcc_lo, v22, v66
	v_lshlrev_b32_e32 v50, v50, v85
	v_lshlrev_b32_e32 v52, v52, v86
	v_lshrrev_b32_e32 v88, v56, v76
	v_lshlrev_b32_e32 v54, v54, v87
	v_cndmask_b32_e64 v22, 0, 1, vcc_lo
	v_cmp_ne_u32_e32 vcc_lo, v48, v68
	v_lshrrev_b32_e32 v89, v58, v78
	v_lshlrev_b32_e32 v56, v56, v88
	v_or_b32_e32 v4, v82, v4
	v_or_b32_e32 v22, v83, v22
	v_cndmask_b32_e64 v48, 0, 1, vcc_lo
	v_cmp_ne_u32_e32 vcc_lo, v50, v70
	v_lshlrev_b32_e32 v58, v58, v89
	v_or_b32_e32 v90, 0x1000, v40
	v_lshrrev_b32_e32 v64, v60, v80
	v_or_b32_e32 v48, v84, v48
	v_cndmask_b32_e64 v50, 0, 1, vcc_lo
	v_cmp_ne_u32_e32 vcc_lo, v52, v72
	v_lshrrev_b32_e32 v66, v62, v90
	v_lshlrev_b32_e32 v60, v60, v64
	v_lshl_or_b32 v0, v0, 9, 0x7c00
	v_or_b32_e32 v50, v85, v50
	v_cndmask_b32_e64 v52, 0, 1, vcc_lo
	v_cmp_ne_u32_e32 vcc_lo, v54, v74
	v_lshlrev_b32_e32 v62, v62, v66
	v_lshl_or_b32 v14, v14, 9, 0x7c00
	v_lshl_or_b32 v26, v26, 9, 0x7c00
	v_or_b32_e32 v52, v86, v52
	v_cndmask_b32_e64 v54, 0, 1, vcc_lo
	v_cmp_ne_u32_e32 vcc_lo, v56, v76
	v_lshl_or_b32 v28, v28, 9, 0x7c00
	v_lshl_or_b32 v2, v2, 9, 0x7c00
	;; [unrolled: 1-line block ×3, first 2 shown]
	v_or_b32_e32 v54, v87, v54
	v_cndmask_b32_e64 v56, 0, 1, vcc_lo
	v_cmp_ne_u32_e32 vcc_lo, v58, v78
	v_cmp_gt_i32_e64 s15, 1, v61
	v_lshl_or_b32 v34, v34, 9, 0x7c00
	v_mul_f64 v[42:43], v[42:43], s[16:17]
	v_or_b32_e32 v56, v88, v56
	v_cndmask_b32_e64 v58, 0, 1, vcc_lo
	v_cmp_gt_i32_e32 vcc_lo, 1, v20
	v_lshrrev_b32_e32 v5, 16, v5
	v_lshrrev_b32_e32 v27, 16, v27
	v_lshrrev_b32_e32 v3, 16, v3
	v_or_b32_e32 v58, v89, v58
	v_cndmask_b32_e32 v4, v65, v4, vcc_lo
	v_cmp_gt_i32_e32 vcc_lo, 1, v30
	v_lshl_or_b32 v36, v36, 9, 0x7c00
	v_lshrrev_b32_e32 v15, 16, v15
	v_lshrrev_b32_e32 v35, 16, v35
	v_and_b32_e32 v65, 7, v4
	v_cndmask_b32_e32 v22, v67, v22, vcc_lo
	v_cmp_gt_i32_e32 vcc_lo, 1, v49
	v_lshrrev_b32_e32 v4, 2, v4
	v_lshrrev_b32_e32 v29, 16, v29
	v_cmp_eq_u32_e64 s0, 3, v65
	v_and_b32_e32 v67, 7, v22
	v_cndmask_b32_e32 v48, v69, v48, vcc_lo
	v_cmp_gt_i32_e32 vcc_lo, 1, v51
	v_lshrrev_b32_e32 v22, 2, v22
	v_lshrrev_b32_e32 v33, 16, v33
	v_cmp_lt_i32_e64 s1, 5, v67
	v_and_b32_e32 v68, 7, v48
	v_cndmask_b32_e32 v50, v71, v50, vcc_lo
	v_cmp_gt_i32_e32 vcc_lo, 1, v53
	v_cmp_eq_u32_e64 s2, 3, v67
	v_lshrrev_b32_e32 v48, 2, v48
	v_cmp_lt_i32_e64 s3, 5, v68
	v_and_b32_e32 v69, 7, v50
	v_cndmask_b32_e32 v52, v73, v52, vcc_lo
	v_cmp_gt_i32_e32 vcc_lo, 1, v55
	v_cmp_eq_u32_e64 s4, 3, v68
	;; [unrolled: 6-line block ×4, first 2 shown]
	v_lshrrev_b32_e32 v54, 2, v54
	v_cmp_lt_i32_e64 s9, 5, v71
	v_and_b32_e32 v72, 7, v56
	v_cndmask_b32_e32 v58, v79, v58, vcc_lo
	v_cmp_ne_u32_e32 vcc_lo, v60, v80
	v_cmp_eq_u32_e64 s10, 3, v71
	v_lshrrev_b32_e32 v56, 2, v56
	v_cmp_lt_i32_e64 s11, 5, v72
	v_and_b32_e32 v73, 7, v58
	v_cndmask_b32_e64 v60, 0, 1, vcc_lo
	v_cmp_ne_u32_e32 vcc_lo, v62, v90
	v_cmp_eq_u32_e64 s12, 3, v72
	v_lshrrev_b32_e32 v58, 2, v58
	v_cmp_lt_i32_e64 s13, 5, v73
	v_cmp_eq_u32_e64 s14, 3, v73
	v_cndmask_b32_e64 v62, 0, 1, vcc_lo
	v_cmp_lt_i32_e32 vcc_lo, 5, v65
	v_or_b32_e32 v60, v64, v60
	v_lshrrev_b32_e32 v37, 16, v37
	v_add_nc_u32_e32 v63, 0xfffffc10, v63
	v_and_or_b32 v42, 0x1ff, v43, v42
	s_or_b32 vcc_lo, s0, vcc_lo
	v_cmp_eq_u32_e64 s0, 0x40f, v20
	v_add_co_ci_u32_e32 v4, vcc_lo, 0, v4, vcc_lo
	s_or_b32 vcc_lo, s2, s1
	v_cndmask_b32_e64 v60, v81, v60, s15
	v_add_co_ci_u32_e32 v22, vcc_lo, 0, v22, vcc_lo
	s_or_b32 vcc_lo, s4, s3
	v_lshl_or_b32 v91, v63, 12, v40
	v_add_co_ci_u32_e32 v48, vcc_lo, 0, v48, vcc_lo
	s_or_b32 vcc_lo, s6, s5
	v_and_b32_e32 v64, 7, v60
	v_add_co_ci_u32_e32 v50, vcc_lo, 0, v50, vcc_lo
	s_or_b32 vcc_lo, s8, s7
	v_lshrrev_b32_e32 v60, 2, v60
	v_add_co_ci_u32_e32 v52, vcc_lo, 0, v52, vcc_lo
	s_or_b32 vcc_lo, s10, s9
	v_or_b32_e32 v62, v66, v62
	v_add_co_ci_u32_e32 v54, vcc_lo, 0, v54, vcc_lo
	s_or_b32 vcc_lo, s12, s11
	v_add_co_ci_u32_e32 v56, vcc_lo, 0, v56, vcc_lo
	s_or_b32 vcc_lo, s14, s13
	v_add_co_ci_u32_e32 v58, vcc_lo, 0, v58, vcc_lo
	v_cmp_gt_i32_e32 vcc_lo, 31, v20
	v_cndmask_b32_e32 v4, 0x7c00, v4, vcc_lo
	v_cmp_gt_i32_e32 vcc_lo, 31, v30
	v_cndmask_b32_e64 v0, v4, v0, s0
	v_cndmask_b32_e32 v22, 0x7c00, v22, vcc_lo
	v_cmp_gt_i32_e32 vcc_lo, 31, v49
	v_cmp_eq_u32_e64 s0, 0x40f, v30
	v_and_or_b32 v0, 0x8000, v5, v0
	v_cndmask_b32_e32 v48, 0x7c00, v48, vcc_lo
	v_cmp_gt_i32_e32 vcc_lo, 31, v51
	v_cndmask_b32_e64 v4, v22, v14, s0
	v_cmp_eq_u32_e64 s0, 0x40f, v49
	v_and_b32_e32 v0, 0xffff, v0
	v_cndmask_b32_e32 v50, 0x7c00, v50, vcc_lo
	v_cmp_gt_i32_e32 vcc_lo, 31, v53
	v_cndmask_b32_e64 v14, v48, v26, s0
	v_cmp_eq_u32_e64 s0, 0x40f, v51
	v_and_or_b32 v4, 0x8000, v15, v4
	v_cndmask_b32_e32 v52, 0x7c00, v52, vcc_lo
	v_cmp_gt_i32_e32 vcc_lo, 31, v55
	v_cndmask_b32_e64 v20, v50, v28, s0
	v_cmp_eq_u32_e64 s0, 0x40f, v53
	v_and_or_b32 v5, 0x8000, v27, v14
	v_lshl_or_b32 v0, v4, 16, v0
	v_cndmask_b32_e32 v54, 0x7c00, v54, vcc_lo
	v_cmp_gt_i32_e32 vcc_lo, 31, v57
	v_cndmask_b32_e64 v2, v52, v2, s0
	v_cmp_eq_u32_e64 s0, 0x40f, v55
	v_and_or_b32 v14, 0x8000, v29, v20
	v_and_b32_e32 v5, 0xffff, v5
	v_cndmask_b32_e32 v56, 0x7c00, v56, vcc_lo
	v_cmp_gt_i32_e32 vcc_lo, 31, v59
	v_cndmask_b32_e64 v22, v54, v32, s0
	v_cmp_eq_u32_e64 s0, 0x40f, v57
	v_and_or_b32 v2, 0x8000, v3, v2
	v_lshl_or_b32 v4, v14, 16, v5
	v_cndmask_b32_e32 v58, 0x7c00, v58, vcc_lo
	v_cmp_lt_i32_e32 vcc_lo, 5, v64
	v_cndmask_b32_e64 v26, v56, v34, s0
	v_cmp_eq_u32_e64 s0, 0x40f, v59
	v_and_or_b32 v3, 0x8000, v33, v22
	v_and_b32_e32 v2, 0xffff, v2
	v_lshrrev_b32_e32 v22, 16, v39
	v_and_or_b32 v15, 0x8000, v35, v26
	v_cndmask_b32_e64 v28, v58, v36, s0
	v_cmp_eq_u32_e64 s0, 3, v64
	v_lshl_or_b32 v2, v3, 16, v2
	v_and_b32_e32 v15, 0xffff, v15
	v_and_or_b32 v20, 0x8000, v37, v28
	s_or_b32 vcc_lo, s0, vcc_lo
	v_add_co_ci_u32_e32 v5, vcc_lo, 0, v60, vcc_lo
	v_cmp_gt_i32_e32 vcc_lo, 31, v61
	v_lshl_or_b32 v3, v20, 16, v15
	global_store_dword v[6:7], v0, off
	global_store_dword v[8:9], v4, off
	;; [unrolled: 1-line block ×4, first 2 shown]
	v_lshl_or_b32 v2, v38, 9, 0x7c00
	v_cndmask_b32_e32 v0, 0x7c00, v5, vcc_lo
	v_cmp_gt_i32_e32 vcc_lo, 1, v63
	v_bfe_u32 v6, v43, 20, 11
	v_lshrrev_b32_e32 v5, 8, v43
	v_lshrrev_b32_e32 v8, 16, v1
	;; [unrolled: 1-line block ×3, first 2 shown]
	v_cndmask_b32_e32 v3, v91, v62, vcc_lo
	v_cmp_ne_u32_e32 vcc_lo, 0, v42
	s_waitcnt vmcnt(5)
	v_mul_f16_sdwa v20, v8, v23 dst_sel:DWORD dst_unused:UNUSED_PAD src0_sel:DWORD src1_sel:WORD_1
	v_and_b32_e32 v7, 7, v3
	v_cndmask_b32_e64 v4, 0, 1, vcc_lo
	v_cmp_eq_u32_e32 vcc_lo, 0x40f, v61
	v_fmac_f16_e32 v20, v1, v23
	v_mul_f16_sdwa v1, v1, v23 dst_sel:DWORD dst_unused:UNUSED_PAD src0_sel:DWORD src1_sel:WORD_1
	v_cmp_eq_u32_e64 s0, 3, v7
	v_and_or_b32 v14, 0xffe, v5, v4
	v_cndmask_b32_e32 v0, v0, v2, vcc_lo
	v_sub_nc_u32_e32 v2, 0x3f1, v6
	v_cmp_lt_i32_e32 vcc_lo, 5, v7
	v_lshrrev_b32_e32 v4, 2, v3
	v_or_b32_e32 v5, 0x1000, v14
	v_and_or_b32 v0, 0x8000, v22, v0
	v_med3_i32 v7, v2, 0, 13
	v_mul_f64 v[2:3], v[46:47], s[16:17]
	s_or_b32 vcc_lo, s0, vcc_lo
	v_fma_f16 v8, v23, v8, -v1
	v_add_co_ci_u32_e32 v4, vcc_lo, 0, v4, vcc_lo
	v_cmp_ne_u32_e32 vcc_lo, 0, v40
	v_lshrrev_b32_e32 v15, v7, v5
	v_and_b32_e32 v0, 0xffff, v0
	v_cvt_f32_f16_e32 v8, v8
	v_cndmask_b32_e64 v9, 0, 1, vcc_lo
	v_cmp_gt_i32_e32 vcc_lo, 31, v63
	v_lshlrev_b32_e32 v7, v7, v15
	v_lshl_or_b32 v9, v9, 9, 0x7c00
	v_cndmask_b32_e32 v4, 0x7c00, v4, vcc_lo
	v_cmp_eq_u32_e32 vcc_lo, 0x40f, v63
	v_cndmask_b32_e32 v9, v4, v9, vcc_lo
	v_cmp_ne_u32_e32 vcc_lo, v7, v5
	v_and_or_b32 v2, 0x1ff, v3, v2
	v_cvt_f32_f16_e32 v4, v20
	v_add_nc_u32_e32 v20, 0xfffffc10, v6
	v_and_or_b32 v6, 0x8000, v24, v9
	v_cndmask_b32_e64 v7, 0, 1, vcc_lo
	v_cmp_ne_u32_e32 vcc_lo, 0, v2
	v_cvt_f64_f32_e32 v[4:5], v4
	v_lshl_or_b32 v9, v20, 12, v14
	v_bfe_u32 v22, v3, 20, 11
	v_or_b32_e32 v7, v15, v7
	v_cndmask_b32_e64 v2, 0, 1, vcc_lo
	v_lshrrev_b32_e32 v15, 8, v3
	v_cmp_gt_i32_e32 vcc_lo, 1, v20
	v_lshl_or_b32 v24, v6, 16, v0
	v_and_or_b32 v2, 0xffe, v15, v2
	v_cndmask_b32_e32 v7, v9, v7, vcc_lo
	v_sub_nc_u32_e32 v9, 0x3f1, v22
	v_add_nc_u32_e32 v22, 0xfffffc10, v22
	v_or_b32_e32 v25, 0x1000, v2
	v_and_b32_e32 v15, 7, v7
	v_med3_i32 v6, v9, 0, 13
	v_cmp_lt_i32_e32 vcc_lo, 5, v15
	v_lshrrev_b32_e32 v9, v6, v25
	v_cmp_eq_u32_e64 s0, 3, v15
	v_mul_f64 v[0:1], v[4:5], s[16:17]
	v_lshrrev_b32_e32 v15, 2, v7
	v_add_co_u32 v4, s1, v44, s18
	v_lshlrev_b32_e32 v23, v6, v9
	s_or_b32 vcc_lo, s0, vcc_lo
	v_cvt_f64_f32_e32 v[6:7], v8
	v_add_co_ci_u32_e32 v8, vcc_lo, 0, v15, vcc_lo
	v_cmp_ne_u32_e32 vcc_lo, v23, v25
	v_add_co_ci_u32_e64 v5, s1, s19, v45, s1
	v_cndmask_b32_e64 v15, 0, 1, vcc_lo
	v_cmp_gt_i32_e32 vcc_lo, 31, v20
	global_store_dword v[4:5], v24, off
	v_lshl_or_b32 v24, v22, 12, v2
	v_or_b32_e32 v15, v9, v15
	v_cndmask_b32_e32 v23, 0x7c00, v8, vcc_lo
	v_cmp_ne_u32_e32 vcc_lo, 0, v14
	ds_read2_b32 v[8:9], v13 offset0:28 offset1:160
	v_and_or_b32 v0, 0x1ff, v1, v0
	v_cndmask_b32_e64 v13, 0, 1, vcc_lo
	v_cmp_gt_i32_e32 vcc_lo, 1, v22
	v_mul_f64 v[6:7], v[6:7], s[16:17]
	v_lshl_or_b32 v13, v13, 9, 0x7c00
	v_cndmask_b32_e32 v14, v24, v15, vcc_lo
	v_cmp_ne_u32_e32 vcc_lo, 0, v0
	v_lshrrev_b32_e32 v15, 8, v1
	v_bfe_u32 v24, v1, 20, 11
	v_lshrrev_b32_e32 v1, 16, v1
	v_and_b32_e32 v25, 7, v14
	v_cndmask_b32_e64 v0, 0, 1, vcc_lo
	v_cmp_eq_u32_e32 vcc_lo, 0x40f, v20
	v_lshrrev_b32_e32 v20, 16, v43
	v_cmp_eq_u32_e64 s0, 3, v25
	v_and_or_b32 v0, 0xffe, v15, v0
	v_sub_nc_u32_e32 v15, 0x3f1, v24
	v_cndmask_b32_e32 v13, v23, v13, vcc_lo
	v_cmp_lt_i32_e32 vcc_lo, 5, v25
	s_waitcnt lgkmcnt(0)
	v_lshrrev_b32_e32 v26, 16, v8
	v_or_b32_e32 v23, 0x1000, v0
	v_med3_i32 v15, v15, 0, 13
	v_and_or_b32 v20, 0x8000, v20, v13
	v_lshrrev_b32_e32 v13, 2, v14
	s_or_b32 vcc_lo, s0, vcc_lo
	s_waitcnt vmcnt(4)
	v_mul_f16_sdwa v14, v26, v21 dst_sel:DWORD dst_unused:UNUSED_PAD src0_sel:DWORD src1_sel:WORD_1
	v_lshrrev_b32_e32 v25, v15, v23
	v_and_or_b32 v6, 0x1ff, v7, v6
	v_add_co_ci_u32_e32 v13, vcc_lo, 0, v13, vcc_lo
	v_cmp_gt_i32_e32 vcc_lo, 31, v22
	v_lshlrev_b32_e32 v15, v15, v25
	v_fmac_f16_e32 v14, v8, v21
	v_bfe_u32 v28, v7, 20, 11
	v_add_nc_u32_e32 v24, 0xfffffc10, v24
	v_cndmask_b32_e32 v27, 0x7c00, v13, vcc_lo
	v_cmp_ne_u32_e32 vcc_lo, v15, v23
	v_cvt_f32_f16_e32 v13, v14
	v_lshrrev_b32_e32 v23, 8, v7
	v_mul_f16_sdwa v8, v8, v21 dst_sel:DWORD dst_unused:UNUSED_PAD src0_sel:DWORD src1_sel:WORD_1
	v_and_b32_e32 v20, 0xffff, v20
	v_cndmask_b32_e64 v15, 0, 1, vcc_lo
	v_cmp_ne_u32_e32 vcc_lo, 0, v6
	v_cvt_f64_f32_e32 v[13:14], v13
	v_fma_f16 v8, v21, v26, -v8
	v_lshrrev_b32_e32 v26, 16, v9
	v_or_b32_e32 v15, v25, v15
	v_cndmask_b32_e64 v6, 0, 1, vcc_lo
	v_cmp_ne_u32_e32 vcc_lo, 0, v2
	v_lshl_or_b32 v25, v24, 12, v0
	v_cvt_f32_f16_e32 v8, v8
	v_lshrrev_b32_e32 v7, 16, v7
	v_and_or_b32 v6, 0xffe, v23, v6
	v_sub_nc_u32_e32 v23, 0x3f1, v28
	v_cndmask_b32_e64 v2, 0, 1, vcc_lo
	v_cmp_gt_i32_e32 vcc_lo, 1, v24
	v_or_b32_e32 v29, 0x1000, v6
	v_med3_i32 v23, v23, 0, 13
	v_lshl_or_b32 v2, v2, 9, 0x7c00
	v_cndmask_b32_e32 v15, v25, v15, vcc_lo
	v_cmp_eq_u32_e32 vcc_lo, 0x40f, v22
	v_lshrrev_b32_e32 v25, v23, v29
	v_and_b32_e32 v30, 7, v15
	v_cndmask_b32_e32 v22, v27, v2, vcc_lo
	v_lshrrev_b32_e32 v27, 16, v3
	v_mul_f64 v[2:3], v[13:14], s[16:17]
	v_lshlrev_b32_e32 v13, v23, v25
	v_cmp_lt_i32_e32 vcc_lo, 5, v30
	v_add_nc_u32_e32 v23, 0xfffffc10, v28
	v_and_or_b32 v21, 0x8000, v27, v22
	v_cmp_ne_u32_e64 s0, v13, v29
	v_cvt_f64_f32_e32 v[13:14], v8
	v_lshrrev_b32_e32 v8, 2, v15
	v_lshl_or_b32 v20, v21, 16, v20
	v_lshl_or_b32 v21, v23, 12, v6
	v_cndmask_b32_e64 v22, 0, 1, s0
	v_cmp_eq_u32_e64 s0, 3, v30
	v_or_b32_e32 v15, v25, v22
	s_or_b32 vcc_lo, s0, vcc_lo
	v_add_co_ci_u32_e32 v8, vcc_lo, 0, v8, vcc_lo
	v_cmp_ne_u32_e32 vcc_lo, 0, v0
	v_and_or_b32 v2, 0x1ff, v3, v2
	v_lshrrev_b32_e32 v22, 8, v3
	v_bfe_u32 v25, v3, 20, 11
	v_cndmask_b32_e64 v0, 0, 1, vcc_lo
	v_cmp_gt_i32_e32 vcc_lo, 1, v23
	v_mul_f64 v[13:14], v[13:14], s[16:17]
	v_lshl_or_b32 v0, v0, 9, 0x7c00
	v_cndmask_b32_e32 v15, v21, v15, vcc_lo
	v_cmp_gt_i32_e32 vcc_lo, 31, v24
	v_and_b32_e32 v21, 7, v15
	v_cndmask_b32_e32 v8, 0x7c00, v8, vcc_lo
	v_cmp_ne_u32_e32 vcc_lo, 0, v2
	v_lshrrev_b32_e32 v15, 2, v15
	v_cmp_eq_u32_e64 s0, 3, v21
	v_cndmask_b32_e64 v2, 0, 1, vcc_lo
	v_cmp_eq_u32_e32 vcc_lo, 0x40f, v24
	v_and_or_b32 v2, 0xffe, v22, v2
	v_cndmask_b32_e32 v0, v8, v0, vcc_lo
	v_sub_nc_u32_e32 v8, 0x3f1, v25
	v_cmp_lt_i32_e32 vcc_lo, 5, v21
	v_or_b32_e32 v21, 0x1000, v2
	v_and_or_b32 v24, 0x8000, v1, v0
	v_med3_i32 v8, v8, 0, 13
	s_or_b32 vcc_lo, s0, vcc_lo
	s_waitcnt vmcnt(3)
	v_mul_f16_sdwa v1, v26, v17 dst_sel:DWORD dst_unused:UNUSED_PAD src0_sel:DWORD src1_sel:WORD_1
	v_add_co_ci_u32_e32 v15, vcc_lo, 0, v15, vcc_lo
	v_lshrrev_b32_e32 v22, v8, v21
	v_cmp_gt_i32_e32 vcc_lo, 31, v23
	v_fmac_f16_e32 v1, v9, v17
	v_and_b32_e32 v24, 0xffff, v24
	v_lshlrev_b32_e32 v0, v8, v22
	v_cndmask_b32_e32 v15, 0x7c00, v15, vcc_lo
	v_cmp_ne_u32_e32 vcc_lo, 0, v6
	v_and_or_b32 v8, 0x1ff, v14, v13
	v_add_nc_u32_e32 v13, 0xfffffc10, v25
	v_bfe_u32 v25, v14, 20, 11
	v_cvt_f32_f16_e32 v1, v1
	v_cndmask_b32_e64 v6, 0, 1, vcc_lo
	v_cmp_ne_u32_e32 vcc_lo, v0, v21
	v_lshrrev_b32_e32 v21, 8, v14
	v_lshl_or_b32 v27, v13, 12, v2
	v_lshrrev_b32_e32 v14, 16, v14
	v_lshl_or_b32 v6, v6, 9, 0x7c00
	v_cndmask_b32_e64 v0, 0, 1, vcc_lo
	v_cmp_ne_u32_e32 vcc_lo, 0, v8
	v_or_b32_e32 v22, v22, v0
	v_cndmask_b32_e64 v8, 0, 1, vcc_lo
	v_cmp_gt_i32_e32 vcc_lo, 1, v13
	v_cvt_f64_f32_e32 v[0:1], v1
	v_and_or_b32 v21, 0xffe, v21, v8
	v_sub_nc_u32_e32 v8, 0x3f1, v25
	v_cndmask_b32_e32 v22, v27, v22, vcc_lo
	v_cmp_eq_u32_e32 vcc_lo, 0x40f, v23
	v_or_b32_e32 v27, 0x1000, v21
	v_med3_i32 v8, v8, 0, 13
	v_cndmask_b32_e32 v6, v15, v6, vcc_lo
	v_and_b32_e32 v15, 7, v22
	v_add_co_u32 v4, vcc_lo, v4, s18
	v_lshrrev_b32_e32 v23, v8, v27
	v_and_or_b32 v28, 0x8000, v7, v6
	v_add_co_ci_u32_e32 v5, vcc_lo, s19, v5, vcc_lo
	v_cmp_lt_i32_e32 vcc_lo, 5, v15
	v_lshlrev_b32_e32 v6, v8, v23
	v_cmp_eq_u32_e64 s0, 3, v15
	v_lshrrev_b32_e32 v7, 2, v22
	v_mul_f16_sdwa v8, v9, v17 dst_sel:DWORD dst_unused:UNUSED_PAD src0_sel:DWORD src1_sel:WORD_1
	v_mul_f64 v[0:1], v[0:1], s[16:17]
	v_cmp_ne_u32_e64 s1, v6, v27
	s_or_b32 vcc_lo, s0, vcc_lo
	v_add_nc_u32_e32 v15, 0xfffffc10, v25
	v_fma_f16 v8, v17, v26, -v8
	v_add_co_ci_u32_e32 v17, vcc_lo, 0, v7, vcc_lo
	v_cndmask_b32_e64 v6, 0, 1, s1
	v_cmp_ne_u32_e32 vcc_lo, 0, v2
	v_lshl_or_b32 v22, v15, 12, v21
	v_cvt_f32_f16_e32 v8, v8
	v_lshrrev_b32_e32 v26, 16, v3
	v_or_b32_e32 v9, v23, v6
	ds_read2_b32 v[6:7], v12 offset0:36 offset1:168
	v_cndmask_b32_e64 v2, 0, 1, vcc_lo
	v_cmp_gt_i32_e32 vcc_lo, 1, v15
	v_lshl_or_b32 v23, v28, 16, v24
	v_lshl_or_b32 v2, v2, 9, 0x7c00
	v_cndmask_b32_e32 v12, v22, v9, vcc_lo
	v_cmp_gt_i32_e32 vcc_lo, 31, v13
	v_cvt_f64_f32_e32 v[8:9], v8
	v_and_or_b32 v0, 0x1ff, v1, v0
	v_and_b32_e32 v22, 7, v12
	v_cndmask_b32_e32 v17, 0x7c00, v17, vcc_lo
	v_cmp_eq_u32_e32 vcc_lo, 0x40f, v13
	v_cmp_ne_u32_e64 s1, 0, v0
	v_cmp_eq_u32_e64 s0, 3, v22
	v_cndmask_b32_e32 v17, v17, v2, vcc_lo
	v_cmp_lt_i32_e32 vcc_lo, 5, v22
	v_lshrrev_b32_e32 v2, 2, v12
	s_waitcnt lgkmcnt(0)
	v_lshrrev_b32_e32 v24, 16, v6
	v_cndmask_b32_e64 v0, 0, 1, s1
	v_lshrrev_b32_e32 v12, 8, v1
	s_or_b32 vcc_lo, s0, vcc_lo
	v_bfe_u32 v22, v1, 20, 11
	v_add_co_ci_u32_e32 v2, vcc_lo, 0, v2, vcc_lo
	s_waitcnt vmcnt(2)
	v_mul_f16_sdwa v13, v24, v18 dst_sel:DWORD dst_unused:UNUSED_PAD src0_sel:DWORD src1_sel:WORD_1
	v_cmp_ne_u32_e32 vcc_lo, 0, v21
	v_mul_f64 v[8:9], v[8:9], s[16:17]
	v_and_or_b32 v0, 0xffe, v12, v0
	v_sub_nc_u32_e32 v12, 0x3f1, v22
	v_fmac_f16_e32 v13, v6, v18
	v_cndmask_b32_e64 v21, 0, 1, vcc_lo
	v_cmp_gt_i32_e32 vcc_lo, 31, v15
	v_or_b32_e32 v25, 0x1000, v0
	v_med3_i32 v12, v12, 0, 13
	v_cvt_f32_f16_e32 v13, v13
	v_lshl_or_b32 v21, v21, 9, 0x7c00
	v_cndmask_b32_e32 v2, 0x7c00, v2, vcc_lo
	v_cmp_eq_u32_e32 vcc_lo, 0x40f, v15
	v_lshrrev_b32_e32 v27, v12, v25
	v_and_or_b32 v17, 0x8000, v26, v17
	v_mul_f16_sdwa v6, v6, v18 dst_sel:DWORD dst_unused:UNUSED_PAD src0_sel:DWORD src1_sel:WORD_1
	v_cndmask_b32_e32 v15, v2, v21, vcc_lo
	v_cvt_f64_f32_e32 v[2:3], v13
	v_lshlrev_b32_e32 v21, v12, v27
	v_add_co_u32 v12, vcc_lo, v4, s18
	v_add_co_ci_u32_e32 v13, vcc_lo, s19, v5, vcc_lo
	v_and_or_b32 v8, 0x1ff, v9, v8
	v_cmp_ne_u32_e32 vcc_lo, v21, v25
	v_and_or_b32 v14, 0x8000, v14, v15
	v_add_nc_u32_e32 v21, 0xfffffc10, v22
	v_lshrrev_b32_e32 v22, 8, v9
	v_bfe_u32 v25, v9, 20, 11
	v_cndmask_b32_e64 v15, 0, 1, vcc_lo
	v_cmp_ne_u32_e32 vcc_lo, 0, v8
	v_lshl_or_b32 v26, v21, 12, v0
	v_and_b32_e32 v17, 0xffff, v17
	global_store_dword v[4:5], v20, off
	global_store_dword v[12:13], v23, off
	v_or_b32_e32 v15, v27, v15
	v_cndmask_b32_e64 v8, 0, 1, vcc_lo
	v_cmp_gt_i32_e32 vcc_lo, 1, v21
	v_lshl_or_b32 v14, v14, 16, v17
	v_fma_f16 v6, v18, v24, -v6
	v_mul_f64 v[2:3], v[2:3], s[16:17]
	v_and_or_b32 v8, 0xffe, v22, v8
	v_sub_nc_u32_e32 v22, 0x3f1, v25
	v_cndmask_b32_e32 v15, v26, v15, vcc_lo
	v_add_co_u32 v4, vcc_lo, v12, s18
	v_or_b32_e32 v26, 0x1000, v8
	v_med3_i32 v22, v22, 0, 13
	v_and_b32_e32 v17, 7, v15
	v_add_co_ci_u32_e32 v5, vcc_lo, s19, v13, vcc_lo
	v_lshrrev_b32_e32 v13, 2, v15
	v_lshrrev_b32_e32 v20, v22, v26
	v_cmp_lt_i32_e32 vcc_lo, 5, v17
	v_cmp_eq_u32_e64 s0, 3, v17
	v_cvt_f32_f16_e32 v6, v6
	v_add_nc_u32_e32 v15, 0xfffffc10, v25
	v_lshlrev_b32_e32 v12, v22, v20
	v_lshrrev_b32_e32 v24, 16, v7
	s_or_b32 vcc_lo, s0, vcc_lo
	v_lshrrev_b32_e32 v9, 16, v9
	v_add_co_ci_u32_e32 v17, vcc_lo, 0, v13, vcc_lo
	v_and_or_b32 v2, 0x1ff, v3, v2
	v_cmp_ne_u32_e64 s1, v12, v26
	v_bfe_u32 v22, v3, 20, 11
	global_store_dword v[4:5], v14, off
	v_cmp_ne_u32_e32 vcc_lo, 0, v2
	v_cndmask_b32_e64 v12, 0, 1, s1
	v_cndmask_b32_e64 v2, 0, 1, vcc_lo
	v_cmp_ne_u32_e32 vcc_lo, 0, v0
	v_or_b32_e32 v18, v20, v12
	v_cvt_f64_f32_e32 v[12:13], v6
	v_lshl_or_b32 v20, v15, 12, v8
	v_lshrrev_b32_e32 v6, 8, v3
	v_cndmask_b32_e64 v0, 0, 1, vcc_lo
	v_cmp_gt_i32_e32 vcc_lo, 1, v15
	v_and_or_b32 v2, 0xffe, v6, v2
	v_sub_nc_u32_e32 v6, 0x3f1, v22
	v_cndmask_b32_e32 v18, v20, v18, vcc_lo
	v_cmp_gt_i32_e32 vcc_lo, 31, v21
	v_lshl_or_b32 v0, v0, 9, 0x7c00
	v_or_b32_e32 v23, 0x1000, v2
	v_med3_i32 v6, v6, 0, 13
	v_and_b32_e32 v20, 7, v18
	v_cndmask_b32_e32 v17, 0x7c00, v17, vcc_lo
	v_cmp_eq_u32_e32 vcc_lo, 0x40f, v21
	v_lshrrev_b32_e32 v21, v6, v23
	v_cmp_eq_u32_e64 s0, 3, v20
	v_cndmask_b32_e32 v17, v17, v0, vcc_lo
	v_cmp_lt_i32_e32 vcc_lo, 5, v20
	v_lshrrev_b32_e32 v20, 16, v1
	v_lshrrev_b32_e32 v1, 2, v18
	v_mul_f64 v[12:13], v[12:13], s[16:17]
	v_lshlrev_b32_e32 v6, v6, v21
	s_or_b32 vcc_lo, s0, vcc_lo
	s_waitcnt vmcnt(1)
	v_mul_f16_sdwa v0, v24, v16 dst_sel:DWORD dst_unused:UNUSED_PAD src0_sel:DWORD src1_sel:WORD_1
	v_add_co_ci_u32_e32 v1, vcc_lo, 0, v1, vcc_lo
	v_cmp_ne_u32_e32 vcc_lo, 0, v8
	v_add_nc_u32_e32 v18, 0xfffffc10, v22
	v_fmac_f16_e32 v0, v7, v16
	v_and_or_b32 v17, 0x8000, v20, v17
	v_cndmask_b32_e64 v8, 0, 1, vcc_lo
	v_cmp_ne_u32_e32 vcc_lo, v6, v23
	v_cvt_f32_f16_e32 v0, v0
	v_lshl_or_b32 v8, v8, 9, 0x7c00
	v_cndmask_b32_e64 v6, 0, 1, vcc_lo
	v_cmp_gt_i32_e32 vcc_lo, 31, v15
	v_or_b32_e32 v6, v21, v6
	v_cndmask_b32_e32 v22, 0x7c00, v1, vcc_lo
	v_cmp_eq_u32_e32 vcc_lo, 0x40f, v15
	v_cvt_f64_f32_e32 v[0:1], v0
	v_lshl_or_b32 v21, v18, 12, v2
	v_and_or_b32 v12, 0x1ff, v13, v12
	v_lshrrev_b32_e32 v15, 8, v13
	v_cndmask_b32_e32 v8, v22, v8, vcc_lo
	v_cmp_gt_i32_e32 vcc_lo, 1, v18
	v_mul_f16_sdwa v22, v7, v16 dst_sel:DWORD dst_unused:UNUSED_PAD src0_sel:DWORD src1_sel:WORD_1
	v_and_or_b32 v8, 0x8000, v9, v8
	v_cndmask_b32_e32 v6, v21, v6, vcc_lo
	v_cmp_ne_u32_e32 vcc_lo, 0, v12
	v_bfe_u32 v21, v13, 20, 11
	v_fma_f16 v16, v16, v24, -v22
	v_and_b32_e32 v20, 7, v6
	v_cndmask_b32_e64 v12, 0, 1, vcc_lo
	v_sub_nc_u32_e32 v9, 0x3f1, v21
	v_lshrrev_b32_e32 v6, 2, v6
	v_cmp_lt_i32_e32 vcc_lo, 5, v20
	v_and_or_b32 v12, 0xffe, v15, v12
	v_cmp_eq_u32_e64 s0, 3, v20
	v_mul_f64 v[0:1], v[0:1], s[16:17]
	v_and_b32_e32 v15, 0xffff, v17
	v_med3_i32 v9, v9, 0, 13
	v_or_b32_e32 v17, 0x1000, v12
	s_or_b32 vcc_lo, s0, vcc_lo
	v_add_co_ci_u32_e32 v6, vcc_lo, 0, v6, vcc_lo
	v_lshl_or_b32 v14, v8, 16, v15
	v_lshrrev_b32_e32 v8, v9, v17
	v_cmp_ne_u32_e32 vcc_lo, 0, v2
	v_add_nc_u32_e32 v15, 0x1600, v31
	v_lshlrev_b32_e32 v9, v9, v8
	v_cndmask_b32_e64 v2, 0, 1, vcc_lo
	v_cmp_gt_i32_e32 vcc_lo, 31, v18
	v_lshl_or_b32 v2, v2, 9, 0x7c00
	v_cndmask_b32_e32 v20, 0x7c00, v6, vcc_lo
	v_cmp_ne_u32_e32 vcc_lo, v9, v17
	ds_read2_b32 v[6:7], v15 offset0:44 offset1:176
	v_and_or_b32 v0, 0x1ff, v1, v0
	v_add_nc_u32_e32 v15, 0xfffffc10, v21
	v_lshrrev_b32_e32 v21, 16, v3
	v_cndmask_b32_e64 v9, 0, 1, vcc_lo
	v_cmp_eq_u32_e32 vcc_lo, 0x40f, v18
	v_lshl_or_b32 v18, v15, 12, v12
	v_cndmask_b32_e32 v17, v20, v2, vcc_lo
	v_cmp_ne_u32_e32 vcc_lo, 0, v0
	v_or_b32_e32 v2, v8, v9
	v_cvt_f32_f16_e32 v8, v16
	v_lshrrev_b32_e32 v16, 8, v1
	v_bfe_u32 v20, v1, 20, 11
	v_cndmask_b32_e64 v0, 0, 1, vcc_lo
	v_cmp_gt_i32_e32 vcc_lo, 1, v15
	v_cvt_f64_f32_e32 v[8:9], v8
	v_and_or_b32 v17, 0x8000, v21, v17
	v_lshrrev_b32_e32 v1, 16, v1
	v_and_or_b32 v0, 0xffe, v16, v0
	v_cndmask_b32_e32 v18, v18, v2, vcc_lo
	v_sub_nc_u32_e32 v2, 0x3f1, v20
	s_waitcnt lgkmcnt(0)
	v_lshrrev_b32_e32 v16, 16, v6
	v_add_nc_u32_e32 v20, 0xfffffc10, v20
	v_or_b32_e32 v23, 0x1000, v0
	v_and_b32_e32 v22, 7, v18
	v_med3_i32 v24, v2, 0, 13
	s_waitcnt vmcnt(0)
	v_mul_f16_sdwa v25, v16, v19 dst_sel:DWORD dst_unused:UNUSED_PAD src0_sel:DWORD src1_sel:WORD_1
	v_add_co_u32 v2, vcc_lo, v4, s18
	v_add_co_ci_u32_e32 v3, vcc_lo, s19, v5, vcc_lo
	v_lshrrev_b32_e32 v21, v24, v23
	v_fmac_f16_e32 v25, v6, v19
	v_cmp_lt_i32_e32 vcc_lo, 5, v22
	v_cmp_eq_u32_e64 s0, 3, v22
	v_lshrrev_b32_e32 v18, 2, v18
	v_lshlrev_b32_e32 v22, v24, v21
	v_cvt_f32_f16_e32 v24, v25
	v_mul_f64 v[4:5], v[8:9], s[16:17]
	s_or_b32 vcc_lo, s0, vcc_lo
	v_mul_f16_sdwa v6, v6, v19 dst_sel:DWORD dst_unused:UNUSED_PAD src0_sel:DWORD src1_sel:WORD_1
	v_add_co_ci_u32_e32 v18, vcc_lo, 0, v18, vcc_lo
	v_cmp_ne_u32_e32 vcc_lo, v22, v23
	v_cvt_f64_f32_e32 v[8:9], v24
	v_fma_f16 v6, v19, v16, -v6
	v_cndmask_b32_e64 v22, 0, 1, vcc_lo
	v_cmp_ne_u32_e32 vcc_lo, 0, v12
	v_cvt_f32_f16_e32 v6, v6
	v_or_b32_e32 v21, v21, v22
	v_cndmask_b32_e64 v12, 0, 1, vcc_lo
	v_cmp_gt_i32_e32 vcc_lo, 31, v15
	v_lshl_or_b32 v22, v20, 12, v0
	v_lshl_or_b32 v12, v12, 9, 0x7c00
	v_cndmask_b32_e32 v16, 0x7c00, v18, vcc_lo
	v_cmp_gt_i32_e32 vcc_lo, 1, v20
	v_and_or_b32 v4, 0x1ff, v5, v4
	v_lshrrev_b32_e32 v19, 8, v5
	v_cndmask_b32_e32 v18, v22, v21, vcc_lo
	v_cmp_eq_u32_e32 vcc_lo, 0x40f, v15
	v_mul_f64 v[8:9], v[8:9], s[16:17]
	v_bfe_u32 v21, v5, 20, 11
	v_lshrrev_b32_e32 v5, 16, v5
	v_cndmask_b32_e32 v15, v16, v12, vcc_lo
	v_lshrrev_b32_e32 v16, 16, v13
	v_cvt_f64_f32_e32 v[12:13], v6
	v_cmp_ne_u32_e32 vcc_lo, 0, v4
	v_and_b32_e32 v6, 7, v18
	v_and_or_b32 v15, 0x8000, v16, v15
	v_and_b32_e32 v16, 0xffff, v17
	v_cndmask_b32_e64 v4, 0, 1, vcc_lo
	v_cmp_lt_i32_e32 vcc_lo, 5, v6
	v_cmp_eq_u32_e64 s0, 3, v6
	v_sub_nc_u32_e32 v17, 0x3f1, v21
	v_lshl_or_b32 v6, v15, 16, v16
	v_lshrrev_b32_e32 v15, 2, v18
	v_and_or_b32 v4, 0xffe, v19, v4
	s_or_b32 vcc_lo, s0, vcc_lo
	v_med3_i32 v17, v17, 0, 13
	v_add_co_ci_u32_e32 v15, vcc_lo, 0, v15, vcc_lo
	v_or_b32_e32 v16, 0x1000, v4
	v_cmp_ne_u32_e32 vcc_lo, 0, v0
	v_and_or_b32 v8, 0x1ff, v9, v8
	v_lshrrev_b32_e32 v19, 8, v9
	v_mul_f64 v[12:13], v[12:13], s[16:17]
	v_lshrrev_b32_e32 v18, v17, v16
	v_cndmask_b32_e64 v0, 0, 1, vcc_lo
	v_cmp_gt_i32_e32 vcc_lo, 31, v20
	v_bfe_u32 v22, v9, 20, 11
	v_lshrrev_b32_e32 v9, 16, v9
	v_lshlrev_b32_e32 v17, v17, v18
	v_lshl_or_b32 v0, v0, 9, 0x7c00
	v_cndmask_b32_e32 v15, 0x7c00, v15, vcc_lo
	v_cmp_ne_u32_e32 vcc_lo, 0, v8
	v_cndmask_b32_e64 v8, 0, 1, vcc_lo
	v_cmp_ne_u32_e32 vcc_lo, v17, v16
	v_add_nc_u32_e32 v17, 0xfffffc10, v21
	v_and_or_b32 v8, 0xffe, v19, v8
	v_cndmask_b32_e64 v16, 0, 1, vcc_lo
	v_sub_nc_u32_e32 v19, 0x3f1, v22
	v_cmp_eq_u32_e32 vcc_lo, 0x40f, v20
	v_and_or_b32 v12, 0x1ff, v13, v12
	v_lshrrev_b32_e32 v20, 8, v13
	v_bfe_u32 v21, v13, 20, 11
	v_med3_i32 v19, v19, 0, 13
	v_cndmask_b32_e32 v0, v15, v0, vcc_lo
	v_or_b32_e32 v15, v18, v16
	v_lshl_or_b32 v16, v17, 12, v4
	v_or_b32_e32 v18, 0x1000, v8
	v_cmp_gt_i32_e32 vcc_lo, 1, v17
	v_and_or_b32 v0, 0x8000, v1, v0
	v_cndmask_b32_e32 v15, v16, v15, vcc_lo
	v_lshrrev_b32_e32 v16, v19, v18
	v_cmp_ne_u32_e32 vcc_lo, 0, v12
	v_and_b32_e32 v23, 7, v15
	v_lshlrev_b32_e32 v19, v19, v16
	v_cndmask_b32_e64 v12, 0, 1, vcc_lo
	v_lshrrev_b32_e32 v15, 2, v15
	v_cmp_lt_i32_e32 vcc_lo, 5, v23
	v_cmp_ne_u32_e64 s0, v19, v18
	v_and_or_b32 v1, 0xffe, v20, v12
	v_sub_nc_u32_e32 v12, 0x3f1, v21
	v_add_nc_u32_e32 v20, 0xfffffc10, v22
	v_cndmask_b32_e64 v18, 0, 1, s0
	v_cmp_eq_u32_e64 s0, 3, v23
	v_or_b32_e32 v19, 0x1000, v1
	v_med3_i32 v12, v12, 0, 13
	v_lshl_or_b32 v22, v20, 12, v8
	v_or_b32_e32 v16, v16, v18
	s_or_b32 vcc_lo, s0, vcc_lo
	v_add_co_ci_u32_e32 v15, vcc_lo, 0, v15, vcc_lo
	v_lshrrev_b32_e32 v18, v12, v19
	v_cmp_gt_i32_e32 vcc_lo, 1, v20
	v_lshlrev_b32_e32 v12, v12, v18
	v_cndmask_b32_e32 v16, v22, v16, vcc_lo
	v_cmp_ne_u32_e32 vcc_lo, 0, v4
	v_cndmask_b32_e64 v4, 0, 1, vcc_lo
	v_cmp_ne_u32_e32 vcc_lo, v12, v19
	v_add_nc_u32_e32 v19, 0xfffffc10, v21
	v_and_b32_e32 v21, 7, v16
	v_lshl_or_b32 v4, v4, 9, 0x7c00
	v_cndmask_b32_e64 v12, 0, 1, vcc_lo
	v_cmp_gt_i32_e32 vcc_lo, 31, v17
	v_cmp_gt_i32_e64 s1, 1, v19
	v_cmp_eq_u32_e64 s0, 3, v21
	v_or_b32_e32 v12, v18, v12
	v_lshl_or_b32 v18, v19, 12, v1
	v_cndmask_b32_e32 v15, 0x7c00, v15, vcc_lo
	v_cmp_lt_i32_e32 vcc_lo, 5, v21
	v_cndmask_b32_e64 v12, v18, v12, s1
	v_cmp_eq_u32_e64 s1, 0x40f, v17
	s_or_b32 vcc_lo, s0, vcc_lo
	v_cndmask_b32_e64 v4, v15, v4, s1
	v_lshrrev_b32_e32 v15, 2, v16
	v_and_b32_e32 v16, 7, v12
	v_lshrrev_b32_e32 v12, 2, v12
	v_cmp_gt_i32_e64 s1, 31, v20
	v_and_or_b32 v4, 0x8000, v5, v4
	v_add_co_ci_u32_e32 v15, vcc_lo, 0, v15, vcc_lo
	v_cmp_ne_u32_e32 vcc_lo, 0, v8
	v_cmp_eq_u32_e64 s0, 3, v16
	v_and_b32_e32 v5, 0xffff, v0
	v_cndmask_b32_e64 v15, 0x7c00, v15, s1
	v_cndmask_b32_e64 v8, 0, 1, vcc_lo
	v_cmp_lt_i32_e32 vcc_lo, 5, v16
	v_lshl_or_b32 v8, v8, 9, 0x7c00
	s_or_b32 vcc_lo, s0, vcc_lo
	v_add_co_ci_u32_e32 v12, vcc_lo, 0, v12, vcc_lo
	v_cmp_ne_u32_e32 vcc_lo, 0, v1
	v_cndmask_b32_e64 v1, 0, 1, vcc_lo
	v_cmp_eq_u32_e32 vcc_lo, 0x40f, v20
	v_lshl_or_b32 v1, v1, 9, 0x7c00
	v_cndmask_b32_e32 v8, v15, v8, vcc_lo
	v_cmp_gt_i32_e32 vcc_lo, 31, v19
	v_and_or_b32 v8, 0x8000, v9, v8
	v_cndmask_b32_e32 v12, 0x7c00, v12, vcc_lo
	v_cmp_eq_u32_e32 vcc_lo, 0x40f, v19
	v_and_b32_e32 v8, 0xffff, v8
	v_cndmask_b32_e32 v9, v12, v1, vcc_lo
	v_lshrrev_b32_e32 v12, 16, v13
	v_add_co_u32 v0, vcc_lo, v2, s18
	v_add_co_ci_u32_e32 v1, vcc_lo, s19, v3, vcc_lo
	v_lshl_or_b32 v13, v4, 16, v5
	v_and_or_b32 v9, 0x8000, v12, v9
	v_add_co_u32 v4, vcc_lo, v0, s18
	v_add_co_ci_u32_e32 v5, vcc_lo, s19, v1, vcc_lo
	v_lshl_or_b32 v12, v9, 16, v8
	v_add_co_u32 v8, vcc_lo, v4, s18
	v_add_co_ci_u32_e32 v9, vcc_lo, s19, v5, vcc_lo
	v_add_co_u32 v10, vcc_lo, 0x1800, v10
	v_add_co_ci_u32_e32 v11, vcc_lo, 0, v11, vcc_lo
	global_store_dword v[2:3], v14, off
	global_store_dword v[0:1], v6, off
	;; [unrolled: 1-line block ×4, first 2 shown]
	v_lshrrev_b32_e32 v1, 16, v7
	global_load_dword v0, v[10:11], off offset:192
	s_waitcnt vmcnt(0)
	v_mul_f16_sdwa v2, v1, v0 dst_sel:DWORD dst_unused:UNUSED_PAD src0_sel:DWORD src1_sel:WORD_1
	v_mul_f16_sdwa v3, v7, v0 dst_sel:DWORD dst_unused:UNUSED_PAD src0_sel:DWORD src1_sel:WORD_1
	v_fmac_f16_e32 v2, v7, v0
	v_fma_f16 v0, v0, v1, -v3
	v_cvt_f32_f16_e32 v1, v2
	v_cvt_f32_f16_e32 v2, v0
	v_cvt_f64_f32_e32 v[0:1], v1
	v_cvt_f64_f32_e32 v[2:3], v2
	v_mul_f64 v[0:1], v[0:1], s[16:17]
	v_mul_f64 v[2:3], v[2:3], s[16:17]
	v_and_or_b32 v0, 0x1ff, v1, v0
	v_and_or_b32 v2, 0x1ff, v3, v2
	v_lshrrev_b32_e32 v4, 8, v1
	v_bfe_u32 v5, v1, 20, 11
	v_lshrrev_b32_e32 v6, 8, v3
	v_cmp_ne_u32_e32 vcc_lo, 0, v0
	v_bfe_u32 v7, v3, 20, 11
	v_lshrrev_b32_e32 v1, 16, v1
	v_lshrrev_b32_e32 v3, 16, v3
	v_cndmask_b32_e64 v0, 0, 1, vcc_lo
	v_cmp_ne_u32_e32 vcc_lo, 0, v2
	v_and_or_b32 v0, 0xffe, v4, v0
	v_cndmask_b32_e64 v2, 0, 1, vcc_lo
	v_sub_nc_u32_e32 v4, 0x3f1, v5
	v_add_nc_u32_e32 v5, 0xfffffc10, v5
	v_or_b32_e32 v10, 0x1000, v0
	v_and_or_b32 v2, 0xffe, v6, v2
	v_sub_nc_u32_e32 v6, 0x3f1, v7
	v_med3_i32 v4, v4, 0, 13
	v_add_nc_u32_e32 v7, 0xfffffc10, v7
	v_or_b32_e32 v11, 0x1000, v2
	v_med3_i32 v6, v6, 0, 13
	v_lshrrev_b32_e32 v12, v4, v10
	v_lshrrev_b32_e32 v13, v6, v11
	v_lshlrev_b32_e32 v4, v4, v12
	v_lshlrev_b32_e32 v6, v6, v13
	v_cmp_ne_u32_e32 vcc_lo, v4, v10
	v_lshl_or_b32 v10, v5, 12, v0
	v_cndmask_b32_e64 v4, 0, 1, vcc_lo
	v_cmp_ne_u32_e32 vcc_lo, v6, v11
	v_lshl_or_b32 v11, v7, 12, v2
	v_or_b32_e32 v4, v12, v4
	v_cndmask_b32_e64 v6, 0, 1, vcc_lo
	v_cmp_gt_i32_e32 vcc_lo, 1, v5
	v_or_b32_e32 v6, v13, v6
	v_cndmask_b32_e32 v4, v10, v4, vcc_lo
	v_cmp_gt_i32_e32 vcc_lo, 1, v7
	v_and_b32_e32 v10, 7, v4
	v_cndmask_b32_e32 v6, v11, v6, vcc_lo
	v_lshrrev_b32_e32 v4, 2, v4
	v_cmp_lt_i32_e32 vcc_lo, 5, v10
	v_cmp_eq_u32_e64 s0, 3, v10
	v_and_b32_e32 v11, 7, v6
	v_lshrrev_b32_e32 v6, 2, v6
	s_or_b32 vcc_lo, s0, vcc_lo
	v_cmp_lt_i32_e64 s1, 5, v11
	v_add_co_ci_u32_e32 v4, vcc_lo, 0, v4, vcc_lo
	v_cmp_eq_u32_e64 s2, 3, v11
	v_cmp_ne_u32_e32 vcc_lo, 0, v0
	v_cndmask_b32_e64 v0, 0, 1, vcc_lo
	s_or_b32 vcc_lo, s2, s1
	v_add_co_ci_u32_e32 v6, vcc_lo, 0, v6, vcc_lo
	v_cmp_ne_u32_e32 vcc_lo, 0, v2
	v_lshl_or_b32 v0, v0, 9, 0x7c00
	v_cndmask_b32_e64 v2, 0, 1, vcc_lo
	v_cmp_gt_i32_e32 vcc_lo, 31, v5
	v_lshl_or_b32 v2, v2, 9, 0x7c00
	v_cndmask_b32_e32 v4, 0x7c00, v4, vcc_lo
	v_cmp_gt_i32_e32 vcc_lo, 31, v7
	v_cndmask_b32_e32 v6, 0x7c00, v6, vcc_lo
	v_cmp_eq_u32_e32 vcc_lo, 0x40f, v5
	v_cndmask_b32_e32 v0, v4, v0, vcc_lo
	v_cmp_eq_u32_e32 vcc_lo, 0x40f, v7
	v_and_or_b32 v0, 0x8000, v1, v0
	v_cndmask_b32_e32 v2, v6, v2, vcc_lo
	v_and_b32_e32 v0, 0xffff, v0
	v_and_or_b32 v1, 0x8000, v3, v2
	v_lshl_or_b32 v2, v1, 16, v0
	v_add_co_u32 v0, vcc_lo, v8, s18
	v_add_co_ci_u32_e32 v1, vcc_lo, s19, v9, vcc_lo
	global_store_dword v[0:1], v2, off
.LBB0_31:
	s_endpgm
	.section	.rodata,"a",@progbits
	.p2align	6, 0x0
	.amdhsa_kernel bluestein_single_back_len1716_dim1_half_op_CI_CI
		.amdhsa_group_segment_fixed_size 6864
		.amdhsa_private_segment_fixed_size 0
		.amdhsa_kernarg_size 104
		.amdhsa_user_sgpr_count 6
		.amdhsa_user_sgpr_private_segment_buffer 1
		.amdhsa_user_sgpr_dispatch_ptr 0
		.amdhsa_user_sgpr_queue_ptr 0
		.amdhsa_user_sgpr_kernarg_segment_ptr 1
		.amdhsa_user_sgpr_dispatch_id 0
		.amdhsa_user_sgpr_flat_scratch_init 0
		.amdhsa_user_sgpr_private_segment_size 0
		.amdhsa_wavefront_size32 1
		.amdhsa_uses_dynamic_stack 0
		.amdhsa_system_sgpr_private_segment_wavefront_offset 0
		.amdhsa_system_sgpr_workgroup_id_x 1
		.amdhsa_system_sgpr_workgroup_id_y 0
		.amdhsa_system_sgpr_workgroup_id_z 0
		.amdhsa_system_sgpr_workgroup_info 0
		.amdhsa_system_vgpr_workitem_id 0
		.amdhsa_next_free_vgpr 182
		.amdhsa_next_free_sgpr 20
		.amdhsa_reserve_vcc 1
		.amdhsa_reserve_flat_scratch 0
		.amdhsa_float_round_mode_32 0
		.amdhsa_float_round_mode_16_64 0
		.amdhsa_float_denorm_mode_32 3
		.amdhsa_float_denorm_mode_16_64 3
		.amdhsa_dx10_clamp 1
		.amdhsa_ieee_mode 1
		.amdhsa_fp16_overflow 0
		.amdhsa_workgroup_processor_mode 1
		.amdhsa_memory_ordered 1
		.amdhsa_forward_progress 0
		.amdhsa_shared_vgpr_count 0
		.amdhsa_exception_fp_ieee_invalid_op 0
		.amdhsa_exception_fp_denorm_src 0
		.amdhsa_exception_fp_ieee_div_zero 0
		.amdhsa_exception_fp_ieee_overflow 0
		.amdhsa_exception_fp_ieee_underflow 0
		.amdhsa_exception_fp_ieee_inexact 0
		.amdhsa_exception_int_div_zero 0
	.end_amdhsa_kernel
	.text
.Lfunc_end0:
	.size	bluestein_single_back_len1716_dim1_half_op_CI_CI, .Lfunc_end0-bluestein_single_back_len1716_dim1_half_op_CI_CI
                                        ; -- End function
	.section	.AMDGPU.csdata,"",@progbits
; Kernel info:
; codeLenInByte = 25804
; NumSgprs: 22
; NumVgprs: 182
; ScratchSize: 0
; MemoryBound: 0
; FloatMode: 240
; IeeeMode: 1
; LDSByteSize: 6864 bytes/workgroup (compile time only)
; SGPRBlocks: 2
; VGPRBlocks: 22
; NumSGPRsForWavesPerEU: 22
; NumVGPRsForWavesPerEU: 182
; Occupancy: 5
; WaveLimiterHint : 1
; COMPUTE_PGM_RSRC2:SCRATCH_EN: 0
; COMPUTE_PGM_RSRC2:USER_SGPR: 6
; COMPUTE_PGM_RSRC2:TRAP_HANDLER: 0
; COMPUTE_PGM_RSRC2:TGID_X_EN: 1
; COMPUTE_PGM_RSRC2:TGID_Y_EN: 0
; COMPUTE_PGM_RSRC2:TGID_Z_EN: 0
; COMPUTE_PGM_RSRC2:TIDIG_COMP_CNT: 0
	.text
	.p2alignl 6, 3214868480
	.fill 48, 4, 3214868480
	.type	__hip_cuid_76b2c5ad2b50e85f,@object ; @__hip_cuid_76b2c5ad2b50e85f
	.section	.bss,"aw",@nobits
	.globl	__hip_cuid_76b2c5ad2b50e85f
__hip_cuid_76b2c5ad2b50e85f:
	.byte	0                               ; 0x0
	.size	__hip_cuid_76b2c5ad2b50e85f, 1

	.ident	"AMD clang version 19.0.0git (https://github.com/RadeonOpenCompute/llvm-project roc-6.4.0 25133 c7fe45cf4b819c5991fe208aaa96edf142730f1d)"
	.section	".note.GNU-stack","",@progbits
	.addrsig
	.addrsig_sym __hip_cuid_76b2c5ad2b50e85f
	.amdgpu_metadata
---
amdhsa.kernels:
  - .args:
      - .actual_access:  read_only
        .address_space:  global
        .offset:         0
        .size:           8
        .value_kind:     global_buffer
      - .actual_access:  read_only
        .address_space:  global
        .offset:         8
        .size:           8
        .value_kind:     global_buffer
      - .actual_access:  read_only
        .address_space:  global
        .offset:         16
        .size:           8
        .value_kind:     global_buffer
      - .actual_access:  read_only
        .address_space:  global
        .offset:         24
        .size:           8
        .value_kind:     global_buffer
      - .actual_access:  read_only
        .address_space:  global
        .offset:         32
        .size:           8
        .value_kind:     global_buffer
      - .offset:         40
        .size:           8
        .value_kind:     by_value
      - .address_space:  global
        .offset:         48
        .size:           8
        .value_kind:     global_buffer
      - .address_space:  global
        .offset:         56
        .size:           8
        .value_kind:     global_buffer
      - .address_space:  global
        .offset:         64
        .size:           8
        .value_kind:     global_buffer
      - .address_space:  global
        .offset:         72
        .size:           8
        .value_kind:     global_buffer
      - .offset:         80
        .size:           4
        .value_kind:     by_value
      - .address_space:  global
        .offset:         88
        .size:           8
        .value_kind:     global_buffer
      - .address_space:  global
        .offset:         96
        .size:           8
        .value_kind:     global_buffer
    .group_segment_fixed_size: 6864
    .kernarg_segment_align: 8
    .kernarg_segment_size: 104
    .language:       OpenCL C
    .language_version:
      - 2
      - 0
    .max_flat_workgroup_size: 156
    .name:           bluestein_single_back_len1716_dim1_half_op_CI_CI
    .private_segment_fixed_size: 0
    .sgpr_count:     22
    .sgpr_spill_count: 0
    .symbol:         bluestein_single_back_len1716_dim1_half_op_CI_CI.kd
    .uniform_work_group_size: 1
    .uses_dynamic_stack: false
    .vgpr_count:     182
    .vgpr_spill_count: 0
    .wavefront_size: 32
    .workgroup_processor_mode: 1
amdhsa.target:   amdgcn-amd-amdhsa--gfx1030
amdhsa.version:
  - 1
  - 2
...

	.end_amdgpu_metadata
